;; amdgpu-corpus repo=LLNL/RAJAPerf kind=compiled arch=gfx1030 opt=O3
	.amdgcn_target "amdgcn-amd-amdhsa--gfx1030"
	.amdhsa_code_object_version 6
	.text
	.protected	_Z9gpuKernelv           ; -- Begin function _Z9gpuKernelv
	.globl	_Z9gpuKernelv
	.p2align	8
	.type	_Z9gpuKernelv,@function
_Z9gpuKernelv:                          ; @_Z9gpuKernelv
; %bb.0:
	s_load_dwordx2 s[2:3], s[4:5], 0x50
	v_mbcnt_lo_u32_b32 v30, -1, 0
	v_mov_b32_e32 v2, v1
	v_mov_b32_e32 v0, 0
	;; [unrolled: 1-line block ×3, first 2 shown]
	v_readfirstlane_b32 s0, v30
	v_cmp_eq_u32_e64 s0, s0, v30
	s_and_saveexec_b32 s1, s0
	s_cbranch_execz .LBB0_6
; %bb.1:
	v_mov_b32_e32 v3, 0
	s_mov_b32 s4, exec_lo
	s_waitcnt lgkmcnt(0)
	global_load_dwordx2 v[6:7], v3, s[2:3] offset:24 glc dlc
	s_waitcnt vmcnt(0)
	buffer_gl1_inv
	buffer_gl0_inv
	s_clause 0x1
	global_load_dwordx2 v[0:1], v3, s[2:3] offset:40
	global_load_dwordx2 v[4:5], v3, s[2:3]
	s_waitcnt vmcnt(1)
	v_and_b32_e32 v1, v1, v7
	v_and_b32_e32 v0, v0, v6
	v_mul_lo_u32 v1, v1, 24
	v_mul_hi_u32 v8, v0, 24
	v_mul_lo_u32 v0, v0, 24
	v_add_nc_u32_e32 v1, v8, v1
	s_waitcnt vmcnt(0)
	v_add_co_u32 v0, vcc_lo, v4, v0
	v_add_co_ci_u32_e64 v1, null, v5, v1, vcc_lo
	global_load_dwordx2 v[4:5], v[0:1], off glc dlc
	s_waitcnt vmcnt(0)
	global_atomic_cmpswap_x2 v[0:1], v3, v[4:7], s[2:3] offset:24 glc
	s_waitcnt vmcnt(0)
	buffer_gl1_inv
	buffer_gl0_inv
	v_cmpx_ne_u64_e64 v[0:1], v[6:7]
	s_cbranch_execz .LBB0_5
; %bb.2:
	s_mov_b32 s5, 0
	.p2align	6
.LBB0_3:                                ; =>This Inner Loop Header: Depth=1
	s_sleep 1
	s_clause 0x1
	global_load_dwordx2 v[4:5], v3, s[2:3] offset:40
	global_load_dwordx2 v[8:9], v3, s[2:3]
	v_mov_b32_e32 v7, v1
	v_mov_b32_e32 v6, v0
	s_waitcnt vmcnt(1)
	v_and_b32_e32 v0, v4, v6
	v_and_b32_e32 v4, v5, v7
	s_waitcnt vmcnt(0)
	v_mad_u64_u32 v[0:1], null, v0, 24, v[8:9]
	v_mad_u64_u32 v[4:5], null, v4, 24, v[1:2]
	v_mov_b32_e32 v1, v4
	global_load_dwordx2 v[4:5], v[0:1], off glc dlc
	s_waitcnt vmcnt(0)
	global_atomic_cmpswap_x2 v[0:1], v3, v[4:7], s[2:3] offset:24 glc
	s_waitcnt vmcnt(0)
	buffer_gl1_inv
	buffer_gl0_inv
	v_cmp_eq_u64_e32 vcc_lo, v[0:1], v[6:7]
	s_or_b32 s5, vcc_lo, s5
	s_andn2_b32 exec_lo, exec_lo, s5
	s_cbranch_execnz .LBB0_3
; %bb.4:
	s_or_b32 exec_lo, exec_lo, s5
.LBB0_5:
	s_or_b32 exec_lo, exec_lo, s4
.LBB0_6:
	s_or_b32 exec_lo, exec_lo, s1
	v_mov_b32_e32 v8, 0
	v_readfirstlane_b32 s5, v1
	v_readfirstlane_b32 s4, v0
	s_mov_b32 s1, exec_lo
	s_waitcnt lgkmcnt(0)
	s_clause 0x1
	global_load_dwordx2 v[9:10], v8, s[2:3] offset:40
	global_load_dwordx4 v[3:6], v8, s[2:3]
	s_waitcnt vmcnt(1)
	v_readfirstlane_b32 s8, v9
	v_readfirstlane_b32 s9, v10
	s_and_b64 s[8:9], s[8:9], s[4:5]
	s_mul_i32 s10, s9, 24
	s_mul_hi_u32 s11, s8, 24
	s_mul_i32 s12, s8, 24
	s_add_i32 s11, s11, s10
	s_waitcnt vmcnt(0)
	v_add_co_u32 v0, vcc_lo, v3, s12
	v_add_co_ci_u32_e64 v1, null, s11, v4, vcc_lo
	s_and_saveexec_b32 s10, s0
	s_cbranch_execz .LBB0_8
; %bb.7:
	v_mov_b32_e32 v7, s1
	v_mov_b32_e32 v9, 2
	;; [unrolled: 1-line block ×3, first 2 shown]
	global_store_dwordx4 v[0:1], v[7:10], off offset:8
.LBB0_8:
	s_or_b32 exec_lo, exec_lo, s10
	s_lshl_b64 s[8:9], s[8:9], 12
	v_lshlrev_b32_e32 v29, 6, v30
	v_add_co_u32 v5, vcc_lo, v5, s8
	v_add_co_ci_u32_e64 v6, null, s9, v6, vcc_lo
	s_mov_b32 s8, 0
	v_add_co_u32 v11, vcc_lo, v5, v29
	s_mov_b32 s11, s8
	s_mov_b32 s9, s8
	s_mov_b32 s10, s8
	v_mov_b32_e32 v7, 33
	v_mov_b32_e32 v9, v8
	;; [unrolled: 1-line block ×3, first 2 shown]
	v_readfirstlane_b32 s12, v5
	v_readfirstlane_b32 s13, v6
	v_mov_b32_e32 v16, s11
	v_add_co_ci_u32_e64 v12, null, 0, v6, vcc_lo
	v_mov_b32_e32 v15, s10
	v_mov_b32_e32 v14, s9
	;; [unrolled: 1-line block ×3, first 2 shown]
	global_store_dwordx4 v29, v[7:10], s[12:13]
	global_store_dwordx4 v29, v[13:16], s[12:13] offset:16
	global_store_dwordx4 v29, v[13:16], s[12:13] offset:32
	;; [unrolled: 1-line block ×3, first 2 shown]
	s_and_saveexec_b32 s1, s0
	s_cbranch_execz .LBB0_16
; %bb.9:
	v_mov_b32_e32 v9, 0
	v_mov_b32_e32 v13, s4
	;; [unrolled: 1-line block ×3, first 2 shown]
	s_mov_b32 s8, exec_lo
	s_clause 0x1
	global_load_dwordx2 v[15:16], v9, s[2:3] offset:32 glc dlc
	global_load_dwordx2 v[5:6], v9, s[2:3] offset:40
	s_waitcnt vmcnt(0)
	v_and_b32_e32 v6, s5, v6
	v_and_b32_e32 v5, s4, v5
	v_mul_lo_u32 v6, v6, 24
	v_mul_hi_u32 v7, v5, 24
	v_mul_lo_u32 v5, v5, 24
	v_add_nc_u32_e32 v6, v7, v6
	v_add_co_u32 v7, vcc_lo, v3, v5
	v_add_co_ci_u32_e64 v8, null, v4, v6, vcc_lo
	global_store_dwordx2 v[7:8], v[15:16], off
	s_waitcnt_vscnt null, 0x0
	global_atomic_cmpswap_x2 v[5:6], v9, v[13:16], s[2:3] offset:32 glc
	s_waitcnt vmcnt(0)
	v_cmpx_ne_u64_e64 v[5:6], v[15:16]
	s_cbranch_execz .LBB0_12
; %bb.10:
	s_mov_b32 s9, 0
.LBB0_11:                               ; =>This Inner Loop Header: Depth=1
	v_mov_b32_e32 v3, s4
	v_mov_b32_e32 v4, s5
	s_sleep 1
	global_store_dwordx2 v[7:8], v[5:6], off
	s_waitcnt_vscnt null, 0x0
	global_atomic_cmpswap_x2 v[3:4], v9, v[3:6], s[2:3] offset:32 glc
	s_waitcnt vmcnt(0)
	v_cmp_eq_u64_e32 vcc_lo, v[3:4], v[5:6]
	v_mov_b32_e32 v6, v4
	v_mov_b32_e32 v5, v3
	s_or_b32 s9, vcc_lo, s9
	s_andn2_b32 exec_lo, exec_lo, s9
	s_cbranch_execnz .LBB0_11
.LBB0_12:
	s_or_b32 exec_lo, exec_lo, s8
	v_mov_b32_e32 v6, 0
	s_mov_b32 s9, exec_lo
	s_mov_b32 s8, exec_lo
	v_mbcnt_lo_u32_b32 v5, s9, 0
	global_load_dwordx2 v[3:4], v6, s[2:3] offset:16
	v_cmpx_eq_u32_e32 0, v5
	s_cbranch_execz .LBB0_14
; %bb.13:
	s_bcnt1_i32_b32 s9, s9
	v_mov_b32_e32 v5, s9
	s_waitcnt vmcnt(0)
	global_atomic_add_x2 v[3:4], v[5:6], off offset:8
.LBB0_14:
	s_or_b32 exec_lo, exec_lo, s8
	s_waitcnt vmcnt(0)
	global_load_dwordx2 v[5:6], v[3:4], off offset:16
	s_waitcnt vmcnt(0)
	v_cmp_eq_u64_e32 vcc_lo, 0, v[5:6]
	s_cbranch_vccnz .LBB0_16
; %bb.15:
	global_load_dword v3, v[3:4], off offset:24
	v_mov_b32_e32 v4, 0
	s_waitcnt vmcnt(0)
	v_readfirstlane_b32 s8, v3
	s_waitcnt_vscnt null, 0x0
	global_store_dwordx2 v[5:6], v[3:4], off
	s_and_b32 m0, s8, 0x7fffff
	s_sendmsg sendmsg(MSG_INTERRUPT)
.LBB0_16:
	s_or_b32 exec_lo, exec_lo, s1
	s_branch .LBB0_20
	.p2align	6
.LBB0_17:                               ;   in Loop: Header=BB0_20 Depth=1
	s_or_b32 exec_lo, exec_lo, s1
	v_readfirstlane_b32 s1, v3
	s_cmp_eq_u32 s1, 0
	s_cbranch_scc1 .LBB0_19
; %bb.18:                               ;   in Loop: Header=BB0_20 Depth=1
	s_sleep 1
	s_cbranch_execnz .LBB0_20
	s_branch .LBB0_22
	.p2align	6
.LBB0_19:
	s_branch .LBB0_22
.LBB0_20:                               ; =>This Inner Loop Header: Depth=1
	v_mov_b32_e32 v3, 1
	s_and_saveexec_b32 s1, s0
	s_cbranch_execz .LBB0_17
; %bb.21:                               ;   in Loop: Header=BB0_20 Depth=1
	global_load_dword v3, v[0:1], off offset:20 glc dlc
	s_waitcnt vmcnt(0)
	buffer_gl1_inv
	buffer_gl0_inv
	v_and_b32_e32 v3, 1, v3
	s_branch .LBB0_17
.LBB0_22:
	global_load_dwordx2 v[3:4], v[11:12], off
	s_and_saveexec_b32 s8, s0
	s_cbranch_execz .LBB0_26
; %bb.23:
	v_mov_b32_e32 v9, 0
	s_clause 0x2
	global_load_dwordx2 v[0:1], v9, s[2:3] offset:40
	global_load_dwordx2 v[12:13], v9, s[2:3] offset:24 glc dlc
	global_load_dwordx2 v[5:6], v9, s[2:3]
	s_waitcnt vmcnt(2)
	v_readfirstlane_b32 s10, v0
	v_readfirstlane_b32 s11, v1
	s_add_u32 s9, s10, 1
	s_addc_u32 s12, s11, 0
	s_add_u32 s0, s9, s4
	s_addc_u32 s1, s12, s5
	s_cmp_eq_u64 s[0:1], 0
	s_cselect_b32 s1, s12, s1
	s_cselect_b32 s0, s9, s0
	v_mov_b32_e32 v11, s1
	s_and_b64 s[4:5], s[0:1], s[10:11]
	v_mov_b32_e32 v10, s0
	s_mul_i32 s5, s5, 24
	s_mul_hi_u32 s9, s4, 24
	s_mul_i32 s4, s4, 24
	s_add_i32 s9, s9, s5
	s_waitcnt vmcnt(0)
	v_add_co_u32 v0, vcc_lo, v5, s4
	v_add_co_ci_u32_e64 v1, null, s9, v6, vcc_lo
	global_store_dwordx2 v[0:1], v[12:13], off
	s_waitcnt_vscnt null, 0x0
	global_atomic_cmpswap_x2 v[7:8], v9, v[10:13], s[2:3] offset:24 glc
	s_waitcnt vmcnt(0)
	v_cmp_ne_u64_e32 vcc_lo, v[7:8], v[12:13]
	s_and_b32 exec_lo, exec_lo, vcc_lo
	s_cbranch_execz .LBB0_26
; %bb.24:
	s_mov_b32 s4, 0
.LBB0_25:                               ; =>This Inner Loop Header: Depth=1
	v_mov_b32_e32 v5, s0
	v_mov_b32_e32 v6, s1
	s_sleep 1
	global_store_dwordx2 v[0:1], v[7:8], off
	s_waitcnt_vscnt null, 0x0
	global_atomic_cmpswap_x2 v[5:6], v9, v[5:8], s[2:3] offset:24 glc
	s_waitcnt vmcnt(0)
	v_cmp_eq_u64_e32 vcc_lo, v[5:6], v[7:8]
	v_mov_b32_e32 v8, v6
	v_mov_b32_e32 v7, v5
	s_or_b32 s4, vcc_lo, s4
	s_andn2_b32 exec_lo, exec_lo, s4
	s_cbranch_execnz .LBB0_25
.LBB0_26:
	s_or_b32 exec_lo, exec_lo, s8
	s_getpc_b64 s[4:5]
	s_add_u32 s4, s4, .str@rel32@lo+4
	s_addc_u32 s5, s5, .str@rel32@hi+12
	s_cmp_lg_u64 s[4:5], 0
	s_cbranch_scc0 .LBB0_105
; %bb.27:
	s_waitcnt vmcnt(0)
	v_and_b32_e32 v31, 2, v3
	v_mov_b32_e32 v10, 0
	v_and_b32_e32 v5, -3, v3
	v_mov_b32_e32 v6, v4
	v_mov_b32_e32 v11, 2
	v_mov_b32_e32 v12, 1
	s_mov_b64 s[8:9], 0x47
	s_branch .LBB0_29
.LBB0_28:                               ;   in Loop: Header=BB0_29 Depth=1
	s_or_b32 exec_lo, exec_lo, s14
	s_sub_u32 s8, s8, s10
	s_subb_u32 s9, s9, s11
	s_add_u32 s4, s4, s10
	s_addc_u32 s5, s5, s11
	s_cmp_lg_u64 s[8:9], 0
	s_cbranch_scc0 .LBB0_104
.LBB0_29:                               ; =>This Loop Header: Depth=1
                                        ;     Child Loop BB0_32 Depth 2
                                        ;     Child Loop BB0_39 Depth 2
                                        ;     Child Loop BB0_46 Depth 2
                                        ;     Child Loop BB0_53 Depth 2
                                        ;     Child Loop BB0_60 Depth 2
                                        ;     Child Loop BB0_67 Depth 2
                                        ;     Child Loop BB0_74 Depth 2
                                        ;     Child Loop BB0_81 Depth 2
                                        ;     Child Loop BB0_89 Depth 2
                                        ;     Child Loop BB0_98 Depth 2
                                        ;     Child Loop BB0_103 Depth 2
	v_cmp_lt_u64_e64 s0, s[8:9], 56
	v_cmp_gt_u64_e64 s12, s[8:9], 7
	s_and_b32 s0, s0, exec_lo
	s_cselect_b32 s11, s9, 0
	s_cselect_b32 s10, s8, 56
	s_add_u32 s0, s4, 8
	s_addc_u32 s1, s5, 0
	s_and_b32 vcc_lo, exec_lo, s12
	s_cbranch_vccnz .LBB0_34
; %bb.30:                               ;   in Loop: Header=BB0_29 Depth=1
	v_mov_b32_e32 v7, 0
	v_mov_b32_e32 v8, 0
	s_cmp_eq_u64 s[8:9], 0
	s_cbranch_scc1 .LBB0_33
; %bb.31:                               ;   in Loop: Header=BB0_29 Depth=1
	s_lshl_b64 s[0:1], s[10:11], 3
	s_mov_b64 s[12:13], 0
	s_mov_b64 s[14:15], s[4:5]
.LBB0_32:                               ;   Parent Loop BB0_29 Depth=1
                                        ; =>  This Inner Loop Header: Depth=2
	global_load_ubyte v0, v10, s[14:15]
	s_waitcnt vmcnt(0)
	v_and_b32_e32 v9, 0xffff, v0
	v_lshlrev_b64 v[0:1], s12, v[9:10]
	s_add_u32 s12, s12, 8
	s_addc_u32 s13, s13, 0
	s_add_u32 s14, s14, 1
	s_addc_u32 s15, s15, 0
	s_cmp_lg_u32 s0, s12
	v_or_b32_e32 v7, v0, v7
	v_or_b32_e32 v8, v1, v8
	s_cbranch_scc1 .LBB0_32
.LBB0_33:                               ;   in Loop: Header=BB0_29 Depth=1
	s_mov_b64 s[0:1], s[4:5]
	s_mov_b32 s16, 0
	s_cbranch_execz .LBB0_35
	s_branch .LBB0_36
.LBB0_34:                               ;   in Loop: Header=BB0_29 Depth=1
	s_mov_b32 s16, 0
.LBB0_35:                               ;   in Loop: Header=BB0_29 Depth=1
	global_load_dwordx2 v[7:8], v10, s[4:5]
	s_add_i32 s16, s10, -8
.LBB0_36:                               ;   in Loop: Header=BB0_29 Depth=1
	s_add_u32 s12, s0, 8
	s_addc_u32 s13, s1, 0
	s_cmp_gt_u32 s16, 7
	s_cbranch_scc1 .LBB0_41
; %bb.37:                               ;   in Loop: Header=BB0_29 Depth=1
	v_mov_b32_e32 v13, 0
	v_mov_b32_e32 v14, 0
	s_cmp_eq_u32 s16, 0
	s_cbranch_scc1 .LBB0_40
; %bb.38:                               ;   in Loop: Header=BB0_29 Depth=1
	s_mov_b64 s[12:13], 0
	s_mov_b64 s[14:15], 0
.LBB0_39:                               ;   Parent Loop BB0_29 Depth=1
                                        ; =>  This Inner Loop Header: Depth=2
	s_add_u32 s18, s0, s14
	s_addc_u32 s19, s1, s15
	s_add_u32 s14, s14, 1
	global_load_ubyte v0, v10, s[18:19]
	s_addc_u32 s15, s15, 0
	s_waitcnt vmcnt(0)
	v_and_b32_e32 v9, 0xffff, v0
	v_lshlrev_b64 v[0:1], s12, v[9:10]
	s_add_u32 s12, s12, 8
	s_addc_u32 s13, s13, 0
	s_cmp_lg_u32 s16, s14
	v_or_b32_e32 v13, v0, v13
	v_or_b32_e32 v14, v1, v14
	s_cbranch_scc1 .LBB0_39
.LBB0_40:                               ;   in Loop: Header=BB0_29 Depth=1
	s_mov_b64 s[12:13], s[0:1]
	s_mov_b32 s17, 0
	s_cbranch_execz .LBB0_42
	s_branch .LBB0_43
.LBB0_41:                               ;   in Loop: Header=BB0_29 Depth=1
                                        ; implicit-def: $vgpr13_vgpr14
	s_mov_b32 s17, 0
.LBB0_42:                               ;   in Loop: Header=BB0_29 Depth=1
	global_load_dwordx2 v[13:14], v10, s[0:1]
	s_add_i32 s17, s16, -8
.LBB0_43:                               ;   in Loop: Header=BB0_29 Depth=1
	s_add_u32 s0, s12, 8
	s_addc_u32 s1, s13, 0
	s_cmp_gt_u32 s17, 7
	s_cbranch_scc1 .LBB0_48
; %bb.44:                               ;   in Loop: Header=BB0_29 Depth=1
	v_mov_b32_e32 v15, 0
	v_mov_b32_e32 v16, 0
	s_cmp_eq_u32 s17, 0
	s_cbranch_scc1 .LBB0_47
; %bb.45:                               ;   in Loop: Header=BB0_29 Depth=1
	s_mov_b64 s[0:1], 0
	s_mov_b64 s[14:15], 0
.LBB0_46:                               ;   Parent Loop BB0_29 Depth=1
                                        ; =>  This Inner Loop Header: Depth=2
	s_add_u32 s18, s12, s14
	s_addc_u32 s19, s13, s15
	s_add_u32 s14, s14, 1
	global_load_ubyte v0, v10, s[18:19]
	s_addc_u32 s15, s15, 0
	s_waitcnt vmcnt(0)
	v_and_b32_e32 v9, 0xffff, v0
	v_lshlrev_b64 v[0:1], s0, v[9:10]
	s_add_u32 s0, s0, 8
	s_addc_u32 s1, s1, 0
	s_cmp_lg_u32 s17, s14
	v_or_b32_e32 v15, v0, v15
	v_or_b32_e32 v16, v1, v16
	s_cbranch_scc1 .LBB0_46
.LBB0_47:                               ;   in Loop: Header=BB0_29 Depth=1
	s_mov_b64 s[0:1], s[12:13]
	s_mov_b32 s16, 0
	s_cbranch_execz .LBB0_49
	s_branch .LBB0_50
.LBB0_48:                               ;   in Loop: Header=BB0_29 Depth=1
	s_mov_b32 s16, 0
.LBB0_49:                               ;   in Loop: Header=BB0_29 Depth=1
	global_load_dwordx2 v[15:16], v10, s[12:13]
	s_add_i32 s16, s17, -8
.LBB0_50:                               ;   in Loop: Header=BB0_29 Depth=1
	s_add_u32 s12, s0, 8
	s_addc_u32 s13, s1, 0
	s_cmp_gt_u32 s16, 7
	s_cbranch_scc1 .LBB0_55
; %bb.51:                               ;   in Loop: Header=BB0_29 Depth=1
	v_mov_b32_e32 v17, 0
	v_mov_b32_e32 v18, 0
	s_cmp_eq_u32 s16, 0
	s_cbranch_scc1 .LBB0_54
; %bb.52:                               ;   in Loop: Header=BB0_29 Depth=1
	s_mov_b64 s[12:13], 0
	s_mov_b64 s[14:15], 0
.LBB0_53:                               ;   Parent Loop BB0_29 Depth=1
                                        ; =>  This Inner Loop Header: Depth=2
	s_add_u32 s18, s0, s14
	s_addc_u32 s19, s1, s15
	s_add_u32 s14, s14, 1
	global_load_ubyte v0, v10, s[18:19]
	s_addc_u32 s15, s15, 0
	s_waitcnt vmcnt(0)
	v_and_b32_e32 v9, 0xffff, v0
	v_lshlrev_b64 v[0:1], s12, v[9:10]
	s_add_u32 s12, s12, 8
	s_addc_u32 s13, s13, 0
	s_cmp_lg_u32 s16, s14
	v_or_b32_e32 v17, v0, v17
	v_or_b32_e32 v18, v1, v18
	s_cbranch_scc1 .LBB0_53
.LBB0_54:                               ;   in Loop: Header=BB0_29 Depth=1
	s_mov_b64 s[12:13], s[0:1]
	s_mov_b32 s17, 0
	s_cbranch_execz .LBB0_56
	s_branch .LBB0_57
.LBB0_55:                               ;   in Loop: Header=BB0_29 Depth=1
                                        ; implicit-def: $vgpr17_vgpr18
	s_mov_b32 s17, 0
.LBB0_56:                               ;   in Loop: Header=BB0_29 Depth=1
	global_load_dwordx2 v[17:18], v10, s[0:1]
	s_add_i32 s17, s16, -8
.LBB0_57:                               ;   in Loop: Header=BB0_29 Depth=1
	s_add_u32 s0, s12, 8
	s_addc_u32 s1, s13, 0
	s_cmp_gt_u32 s17, 7
	s_cbranch_scc1 .LBB0_62
; %bb.58:                               ;   in Loop: Header=BB0_29 Depth=1
	v_mov_b32_e32 v19, 0
	v_mov_b32_e32 v20, 0
	s_cmp_eq_u32 s17, 0
	s_cbranch_scc1 .LBB0_61
; %bb.59:                               ;   in Loop: Header=BB0_29 Depth=1
	s_mov_b64 s[0:1], 0
	s_mov_b64 s[14:15], 0
.LBB0_60:                               ;   Parent Loop BB0_29 Depth=1
                                        ; =>  This Inner Loop Header: Depth=2
	s_add_u32 s18, s12, s14
	s_addc_u32 s19, s13, s15
	s_add_u32 s14, s14, 1
	global_load_ubyte v0, v10, s[18:19]
	s_addc_u32 s15, s15, 0
	s_waitcnt vmcnt(0)
	v_and_b32_e32 v9, 0xffff, v0
	v_lshlrev_b64 v[0:1], s0, v[9:10]
	s_add_u32 s0, s0, 8
	s_addc_u32 s1, s1, 0
	s_cmp_lg_u32 s17, s14
	v_or_b32_e32 v19, v0, v19
	v_or_b32_e32 v20, v1, v20
	s_cbranch_scc1 .LBB0_60
.LBB0_61:                               ;   in Loop: Header=BB0_29 Depth=1
	s_mov_b64 s[0:1], s[12:13]
	s_mov_b32 s16, 0
	s_cbranch_execz .LBB0_63
	s_branch .LBB0_64
.LBB0_62:                               ;   in Loop: Header=BB0_29 Depth=1
	s_mov_b32 s16, 0
.LBB0_63:                               ;   in Loop: Header=BB0_29 Depth=1
	global_load_dwordx2 v[19:20], v10, s[12:13]
	s_add_i32 s16, s17, -8
.LBB0_64:                               ;   in Loop: Header=BB0_29 Depth=1
	s_add_u32 s12, s0, 8
	s_addc_u32 s13, s1, 0
	s_cmp_gt_u32 s16, 7
	s_cbranch_scc1 .LBB0_69
; %bb.65:                               ;   in Loop: Header=BB0_29 Depth=1
	v_mov_b32_e32 v21, 0
	v_mov_b32_e32 v22, 0
	s_cmp_eq_u32 s16, 0
	s_cbranch_scc1 .LBB0_68
; %bb.66:                               ;   in Loop: Header=BB0_29 Depth=1
	s_mov_b64 s[12:13], 0
	s_mov_b64 s[14:15], 0
.LBB0_67:                               ;   Parent Loop BB0_29 Depth=1
                                        ; =>  This Inner Loop Header: Depth=2
	s_add_u32 s18, s0, s14
	s_addc_u32 s19, s1, s15
	s_add_u32 s14, s14, 1
	global_load_ubyte v0, v10, s[18:19]
	s_addc_u32 s15, s15, 0
	s_waitcnt vmcnt(0)
	v_and_b32_e32 v9, 0xffff, v0
	v_lshlrev_b64 v[0:1], s12, v[9:10]
	s_add_u32 s12, s12, 8
	s_addc_u32 s13, s13, 0
	s_cmp_lg_u32 s16, s14
	v_or_b32_e32 v21, v0, v21
	v_or_b32_e32 v22, v1, v22
	s_cbranch_scc1 .LBB0_67
.LBB0_68:                               ;   in Loop: Header=BB0_29 Depth=1
	s_mov_b64 s[12:13], s[0:1]
	s_mov_b32 s17, 0
	s_cbranch_execz .LBB0_70
	s_branch .LBB0_71
.LBB0_69:                               ;   in Loop: Header=BB0_29 Depth=1
                                        ; implicit-def: $vgpr21_vgpr22
	s_mov_b32 s17, 0
.LBB0_70:                               ;   in Loop: Header=BB0_29 Depth=1
	global_load_dwordx2 v[21:22], v10, s[0:1]
	s_add_i32 s17, s16, -8
.LBB0_71:                               ;   in Loop: Header=BB0_29 Depth=1
	s_cmp_gt_u32 s17, 7
	s_cbranch_scc1 .LBB0_76
; %bb.72:                               ;   in Loop: Header=BB0_29 Depth=1
	v_mov_b32_e32 v23, 0
	v_mov_b32_e32 v24, 0
	s_cmp_eq_u32 s17, 0
	s_cbranch_scc1 .LBB0_75
; %bb.73:                               ;   in Loop: Header=BB0_29 Depth=1
	s_mov_b64 s[0:1], 0
	s_mov_b64 s[14:15], s[12:13]
.LBB0_74:                               ;   Parent Loop BB0_29 Depth=1
                                        ; =>  This Inner Loop Header: Depth=2
	global_load_ubyte v0, v10, s[14:15]
	s_add_i32 s17, s17, -1
	s_waitcnt vmcnt(0)
	v_and_b32_e32 v9, 0xffff, v0
	v_lshlrev_b64 v[0:1], s0, v[9:10]
	s_add_u32 s0, s0, 8
	s_addc_u32 s1, s1, 0
	s_add_u32 s14, s14, 1
	s_addc_u32 s15, s15, 0
	s_cmp_lg_u32 s17, 0
	v_or_b32_e32 v23, v0, v23
	v_or_b32_e32 v24, v1, v24
	s_cbranch_scc1 .LBB0_74
.LBB0_75:                               ;   in Loop: Header=BB0_29 Depth=1
	s_cbranch_execz .LBB0_77
	s_branch .LBB0_78
.LBB0_76:                               ;   in Loop: Header=BB0_29 Depth=1
.LBB0_77:                               ;   in Loop: Header=BB0_29 Depth=1
	global_load_dwordx2 v[23:24], v10, s[12:13]
.LBB0_78:                               ;   in Loop: Header=BB0_29 Depth=1
	v_readfirstlane_b32 s0, v30
	v_mov_b32_e32 v0, 0
	v_mov_b32_e32 v1, 0
	v_cmp_eq_u32_e64 s0, s0, v30
	s_and_saveexec_b32 s1, s0
	s_cbranch_execz .LBB0_84
; %bb.79:                               ;   in Loop: Header=BB0_29 Depth=1
	global_load_dwordx2 v[27:28], v10, s[2:3] offset:24 glc dlc
	s_waitcnt vmcnt(0)
	buffer_gl1_inv
	buffer_gl0_inv
	s_clause 0x1
	global_load_dwordx2 v[0:1], v10, s[2:3] offset:40
	global_load_dwordx2 v[25:26], v10, s[2:3]
	s_mov_b32 s12, exec_lo
	s_waitcnt vmcnt(1)
	v_and_b32_e32 v1, v1, v28
	v_and_b32_e32 v0, v0, v27
	v_mul_lo_u32 v1, v1, 24
	v_mul_hi_u32 v9, v0, 24
	v_mul_lo_u32 v0, v0, 24
	v_add_nc_u32_e32 v1, v9, v1
	s_waitcnt vmcnt(0)
	v_add_co_u32 v0, vcc_lo, v25, v0
	v_add_co_ci_u32_e64 v1, null, v26, v1, vcc_lo
	global_load_dwordx2 v[25:26], v[0:1], off glc dlc
	s_waitcnt vmcnt(0)
	global_atomic_cmpswap_x2 v[0:1], v10, v[25:28], s[2:3] offset:24 glc
	s_waitcnt vmcnt(0)
	buffer_gl1_inv
	buffer_gl0_inv
	v_cmpx_ne_u64_e64 v[0:1], v[27:28]
	s_cbranch_execz .LBB0_83
; %bb.80:                               ;   in Loop: Header=BB0_29 Depth=1
	s_mov_b32 s13, 0
	.p2align	6
.LBB0_81:                               ;   Parent Loop BB0_29 Depth=1
                                        ; =>  This Inner Loop Header: Depth=2
	s_sleep 1
	s_clause 0x1
	global_load_dwordx2 v[25:26], v10, s[2:3] offset:40
	global_load_dwordx2 v[32:33], v10, s[2:3]
	v_mov_b32_e32 v28, v1
	v_mov_b32_e32 v27, v0
	s_waitcnt vmcnt(1)
	v_and_b32_e32 v0, v25, v27
	v_and_b32_e32 v9, v26, v28
	s_waitcnt vmcnt(0)
	v_mad_u64_u32 v[0:1], null, v0, 24, v[32:33]
	v_mad_u64_u32 v[25:26], null, v9, 24, v[1:2]
	v_mov_b32_e32 v1, v25
	global_load_dwordx2 v[25:26], v[0:1], off glc dlc
	s_waitcnt vmcnt(0)
	global_atomic_cmpswap_x2 v[0:1], v10, v[25:28], s[2:3] offset:24 glc
	s_waitcnt vmcnt(0)
	buffer_gl1_inv
	buffer_gl0_inv
	v_cmp_eq_u64_e32 vcc_lo, v[0:1], v[27:28]
	s_or_b32 s13, vcc_lo, s13
	s_andn2_b32 exec_lo, exec_lo, s13
	s_cbranch_execnz .LBB0_81
; %bb.82:                               ;   in Loop: Header=BB0_29 Depth=1
	s_or_b32 exec_lo, exec_lo, s13
.LBB0_83:                               ;   in Loop: Header=BB0_29 Depth=1
	s_or_b32 exec_lo, exec_lo, s12
.LBB0_84:                               ;   in Loop: Header=BB0_29 Depth=1
	s_or_b32 exec_lo, exec_lo, s1
	s_clause 0x1
	global_load_dwordx2 v[32:33], v10, s[2:3] offset:40
	global_load_dwordx4 v[25:28], v10, s[2:3]
	v_readfirstlane_b32 s13, v1
	v_readfirstlane_b32 s12, v0
	s_mov_b32 s1, exec_lo
	s_waitcnt vmcnt(1)
	v_readfirstlane_b32 s14, v32
	v_readfirstlane_b32 s15, v33
	s_and_b64 s[14:15], s[14:15], s[12:13]
	s_mul_i32 s16, s15, 24
	s_mul_hi_u32 s17, s14, 24
	s_mul_i32 s18, s14, 24
	s_add_i32 s17, s17, s16
	s_waitcnt vmcnt(0)
	v_add_co_u32 v0, vcc_lo, v25, s18
	v_add_co_ci_u32_e64 v1, null, s17, v26, vcc_lo
	s_and_saveexec_b32 s16, s0
	s_cbranch_execz .LBB0_86
; %bb.85:                               ;   in Loop: Header=BB0_29 Depth=1
	v_mov_b32_e32 v9, s1
	global_store_dwordx4 v[0:1], v[9:12], off offset:8
.LBB0_86:                               ;   in Loop: Header=BB0_29 Depth=1
	s_or_b32 exec_lo, exec_lo, s16
	v_cmp_lt_u64_e64 vcc_lo, s[8:9], 57
	s_lshl_b64 s[14:15], s[14:15], 12
	v_and_b32_e32 v5, 0xffffff1f, v5
	s_lshl_b32 s1, s10, 2
	s_add_i32 s1, s1, 28
	v_cndmask_b32_e32 v9, 0, v31, vcc_lo
	v_add_co_u32 v27, vcc_lo, v27, s14
	v_add_co_ci_u32_e64 v28, null, s15, v28, vcc_lo
	v_or_b32_e32 v5, v5, v9
	v_readfirstlane_b32 s14, v27
	v_readfirstlane_b32 s15, v28
	v_and_or_b32 v5, 0x1e0, s1, v5
	global_store_dwordx4 v29, v[13:16], s[14:15] offset:16
	global_store_dwordx4 v29, v[5:8], s[14:15]
	global_store_dwordx4 v29, v[17:20], s[14:15] offset:32
	global_store_dwordx4 v29, v[21:24], s[14:15] offset:48
	s_and_saveexec_b32 s1, s0
	s_cbranch_execz .LBB0_94
; %bb.87:                               ;   in Loop: Header=BB0_29 Depth=1
	s_clause 0x1
	global_load_dwordx2 v[17:18], v10, s[2:3] offset:32 glc dlc
	global_load_dwordx2 v[5:6], v10, s[2:3] offset:40
	v_mov_b32_e32 v15, s12
	v_mov_b32_e32 v16, s13
	s_waitcnt vmcnt(0)
	v_readfirstlane_b32 s14, v5
	v_readfirstlane_b32 s15, v6
	s_and_b64 s[14:15], s[14:15], s[12:13]
	s_mul_i32 s15, s15, 24
	s_mul_hi_u32 s16, s14, 24
	s_mul_i32 s14, s14, 24
	s_add_i32 s16, s16, s15
	v_add_co_u32 v13, vcc_lo, v25, s14
	v_add_co_ci_u32_e64 v14, null, s16, v26, vcc_lo
	s_mov_b32 s14, exec_lo
	global_store_dwordx2 v[13:14], v[17:18], off
	s_waitcnt_vscnt null, 0x0
	global_atomic_cmpswap_x2 v[7:8], v10, v[15:18], s[2:3] offset:32 glc
	s_waitcnt vmcnt(0)
	v_cmpx_ne_u64_e64 v[7:8], v[17:18]
	s_cbranch_execz .LBB0_90
; %bb.88:                               ;   in Loop: Header=BB0_29 Depth=1
	s_mov_b32 s15, 0
.LBB0_89:                               ;   Parent Loop BB0_29 Depth=1
                                        ; =>  This Inner Loop Header: Depth=2
	v_mov_b32_e32 v5, s12
	v_mov_b32_e32 v6, s13
	s_sleep 1
	global_store_dwordx2 v[13:14], v[7:8], off
	s_waitcnt_vscnt null, 0x0
	global_atomic_cmpswap_x2 v[5:6], v10, v[5:8], s[2:3] offset:32 glc
	s_waitcnt vmcnt(0)
	v_cmp_eq_u64_e32 vcc_lo, v[5:6], v[7:8]
	v_mov_b32_e32 v8, v6
	v_mov_b32_e32 v7, v5
	s_or_b32 s15, vcc_lo, s15
	s_andn2_b32 exec_lo, exec_lo, s15
	s_cbranch_execnz .LBB0_89
.LBB0_90:                               ;   in Loop: Header=BB0_29 Depth=1
	s_or_b32 exec_lo, exec_lo, s14
	global_load_dwordx2 v[5:6], v10, s[2:3] offset:16
	s_mov_b32 s15, exec_lo
	s_mov_b32 s14, exec_lo
	v_mbcnt_lo_u32_b32 v7, s15, 0
	v_cmpx_eq_u32_e32 0, v7
	s_cbranch_execz .LBB0_92
; %bb.91:                               ;   in Loop: Header=BB0_29 Depth=1
	s_bcnt1_i32_b32 s15, s15
	v_mov_b32_e32 v9, s15
	s_waitcnt vmcnt(0)
	global_atomic_add_x2 v[5:6], v[9:10], off offset:8
.LBB0_92:                               ;   in Loop: Header=BB0_29 Depth=1
	s_or_b32 exec_lo, exec_lo, s14
	s_waitcnt vmcnt(0)
	global_load_dwordx2 v[7:8], v[5:6], off offset:16
	s_waitcnt vmcnt(0)
	v_cmp_eq_u64_e32 vcc_lo, 0, v[7:8]
	s_cbranch_vccnz .LBB0_94
; %bb.93:                               ;   in Loop: Header=BB0_29 Depth=1
	global_load_dword v9, v[5:6], off offset:24
	s_waitcnt vmcnt(0)
	v_readfirstlane_b32 s14, v9
	s_waitcnt_vscnt null, 0x0
	global_store_dwordx2 v[7:8], v[9:10], off
	s_and_b32 m0, s14, 0x7fffff
	s_sendmsg sendmsg(MSG_INTERRUPT)
.LBB0_94:                               ;   in Loop: Header=BB0_29 Depth=1
	s_or_b32 exec_lo, exec_lo, s1
	v_add_co_u32 v5, vcc_lo, v27, v29
	v_add_co_ci_u32_e64 v6, null, 0, v28, vcc_lo
	s_branch .LBB0_98
	.p2align	6
.LBB0_95:                               ;   in Loop: Header=BB0_98 Depth=2
	s_or_b32 exec_lo, exec_lo, s1
	v_readfirstlane_b32 s1, v7
	s_cmp_eq_u32 s1, 0
	s_cbranch_scc1 .LBB0_97
; %bb.96:                               ;   in Loop: Header=BB0_98 Depth=2
	s_sleep 1
	s_cbranch_execnz .LBB0_98
	s_branch .LBB0_100
	.p2align	6
.LBB0_97:                               ;   in Loop: Header=BB0_29 Depth=1
	s_branch .LBB0_100
.LBB0_98:                               ;   Parent Loop BB0_29 Depth=1
                                        ; =>  This Inner Loop Header: Depth=2
	v_mov_b32_e32 v7, 1
	s_and_saveexec_b32 s1, s0
	s_cbranch_execz .LBB0_95
; %bb.99:                               ;   in Loop: Header=BB0_98 Depth=2
	global_load_dword v7, v[0:1], off offset:20 glc dlc
	s_waitcnt vmcnt(0)
	buffer_gl1_inv
	buffer_gl0_inv
	v_and_b32_e32 v7, 1, v7
	s_branch .LBB0_95
.LBB0_100:                              ;   in Loop: Header=BB0_29 Depth=1
	global_load_dwordx2 v[5:6], v[5:6], off
	s_and_saveexec_b32 s14, s0
	s_cbranch_execz .LBB0_28
; %bb.101:                              ;   in Loop: Header=BB0_29 Depth=1
	s_clause 0x2
	global_load_dwordx2 v[0:1], v10, s[2:3] offset:40
	global_load_dwordx2 v[17:18], v10, s[2:3] offset:24 glc dlc
	global_load_dwordx2 v[7:8], v10, s[2:3]
	s_waitcnt vmcnt(2)
	v_readfirstlane_b32 s16, v0
	v_readfirstlane_b32 s17, v1
	s_add_u32 s15, s16, 1
	s_addc_u32 s18, s17, 0
	s_add_u32 s0, s15, s12
	s_addc_u32 s1, s18, s13
	s_cmp_eq_u64 s[0:1], 0
	s_cselect_b32 s1, s18, s1
	s_cselect_b32 s0, s15, s0
	v_mov_b32_e32 v16, s1
	s_and_b64 s[12:13], s[0:1], s[16:17]
	v_mov_b32_e32 v15, s0
	s_mul_i32 s13, s13, 24
	s_mul_hi_u32 s15, s12, 24
	s_mul_i32 s12, s12, 24
	s_add_i32 s15, s15, s13
	s_waitcnt vmcnt(0)
	v_add_co_u32 v0, vcc_lo, v7, s12
	v_add_co_ci_u32_e64 v1, null, s15, v8, vcc_lo
	global_store_dwordx2 v[0:1], v[17:18], off
	s_waitcnt_vscnt null, 0x0
	global_atomic_cmpswap_x2 v[15:16], v10, v[15:18], s[2:3] offset:24 glc
	s_waitcnt vmcnt(0)
	v_cmp_ne_u64_e32 vcc_lo, v[15:16], v[17:18]
	s_and_b32 exec_lo, exec_lo, vcc_lo
	s_cbranch_execz .LBB0_28
; %bb.102:                              ;   in Loop: Header=BB0_29 Depth=1
	s_mov_b32 s12, 0
.LBB0_103:                              ;   Parent Loop BB0_29 Depth=1
                                        ; =>  This Inner Loop Header: Depth=2
	v_mov_b32_e32 v13, s0
	v_mov_b32_e32 v14, s1
	s_sleep 1
	global_store_dwordx2 v[0:1], v[15:16], off
	s_waitcnt_vscnt null, 0x0
	global_atomic_cmpswap_x2 v[7:8], v10, v[13:16], s[2:3] offset:24 glc
	s_waitcnt vmcnt(0)
	v_cmp_eq_u64_e32 vcc_lo, v[7:8], v[15:16]
	v_mov_b32_e32 v16, v8
	v_mov_b32_e32 v15, v7
	s_or_b32 s12, vcc_lo, s12
	s_andn2_b32 exec_lo, exec_lo, s12
	s_cbranch_execnz .LBB0_103
	s_branch .LBB0_28
.LBB0_104:
	s_branch .LBB0_133
.LBB0_105:
                                        ; implicit-def: $vgpr5_vgpr6
	s_cbranch_execz .LBB0_133
; %bb.106:
	v_readfirstlane_b32 s0, v30
	v_mov_b32_e32 v0, 0
	v_mov_b32_e32 v1, 0
	v_cmp_eq_u32_e64 s0, s0, v30
	s_and_saveexec_b32 s1, s0
	s_cbranch_execz .LBB0_112
; %bb.107:
	s_waitcnt vmcnt(0)
	v_mov_b32_e32 v5, 0
	s_mov_b32 s4, exec_lo
	global_load_dwordx2 v[8:9], v5, s[2:3] offset:24 glc dlc
	s_waitcnt vmcnt(0)
	buffer_gl1_inv
	buffer_gl0_inv
	s_clause 0x1
	global_load_dwordx2 v[0:1], v5, s[2:3] offset:40
	global_load_dwordx2 v[6:7], v5, s[2:3]
	s_waitcnt vmcnt(1)
	v_and_b32_e32 v1, v1, v9
	v_and_b32_e32 v0, v0, v8
	v_mul_lo_u32 v1, v1, 24
	v_mul_hi_u32 v10, v0, 24
	v_mul_lo_u32 v0, v0, 24
	v_add_nc_u32_e32 v1, v10, v1
	s_waitcnt vmcnt(0)
	v_add_co_u32 v0, vcc_lo, v6, v0
	v_add_co_ci_u32_e64 v1, null, v7, v1, vcc_lo
	global_load_dwordx2 v[6:7], v[0:1], off glc dlc
	s_waitcnt vmcnt(0)
	global_atomic_cmpswap_x2 v[0:1], v5, v[6:9], s[2:3] offset:24 glc
	s_waitcnt vmcnt(0)
	buffer_gl1_inv
	buffer_gl0_inv
	v_cmpx_ne_u64_e64 v[0:1], v[8:9]
	s_cbranch_execz .LBB0_111
; %bb.108:
	s_mov_b32 s5, 0
	.p2align	6
.LBB0_109:                              ; =>This Inner Loop Header: Depth=1
	s_sleep 1
	s_clause 0x1
	global_load_dwordx2 v[6:7], v5, s[2:3] offset:40
	global_load_dwordx2 v[10:11], v5, s[2:3]
	v_mov_b32_e32 v9, v1
	v_mov_b32_e32 v8, v0
	s_waitcnt vmcnt(1)
	v_and_b32_e32 v0, v6, v8
	v_and_b32_e32 v6, v7, v9
	s_waitcnt vmcnt(0)
	v_mad_u64_u32 v[0:1], null, v0, 24, v[10:11]
	v_mad_u64_u32 v[6:7], null, v6, 24, v[1:2]
	v_mov_b32_e32 v1, v6
	global_load_dwordx2 v[6:7], v[0:1], off glc dlc
	s_waitcnt vmcnt(0)
	global_atomic_cmpswap_x2 v[0:1], v5, v[6:9], s[2:3] offset:24 glc
	s_waitcnt vmcnt(0)
	buffer_gl1_inv
	buffer_gl0_inv
	v_cmp_eq_u64_e32 vcc_lo, v[0:1], v[8:9]
	s_or_b32 s5, vcc_lo, s5
	s_andn2_b32 exec_lo, exec_lo, s5
	s_cbranch_execnz .LBB0_109
; %bb.110:
	s_or_b32 exec_lo, exec_lo, s5
.LBB0_111:
	s_or_b32 exec_lo, exec_lo, s4
.LBB0_112:
	s_or_b32 exec_lo, exec_lo, s1
	s_waitcnt vmcnt(0)
	v_mov_b32_e32 v5, 0
	v_readfirstlane_b32 s5, v1
	v_readfirstlane_b32 s4, v0
	s_mov_b32 s1, exec_lo
	s_clause 0x1
	global_load_dwordx2 v[11:12], v5, s[2:3] offset:40
	global_load_dwordx4 v[7:10], v5, s[2:3]
	s_waitcnt vmcnt(1)
	v_readfirstlane_b32 s8, v11
	v_readfirstlane_b32 s9, v12
	s_and_b64 s[8:9], s[8:9], s[4:5]
	s_mul_i32 s10, s9, 24
	s_mul_hi_u32 s11, s8, 24
	s_mul_i32 s12, s8, 24
	s_add_i32 s11, s11, s10
	s_waitcnt vmcnt(0)
	v_add_co_u32 v0, vcc_lo, v7, s12
	v_add_co_ci_u32_e64 v1, null, s11, v8, vcc_lo
	s_and_saveexec_b32 s10, s0
	s_cbranch_execz .LBB0_114
; %bb.113:
	v_mov_b32_e32 v11, s1
	v_mov_b32_e32 v12, v5
	;; [unrolled: 1-line block ×4, first 2 shown]
	global_store_dwordx4 v[0:1], v[11:14], off offset:8
.LBB0_114:
	s_or_b32 exec_lo, exec_lo, s10
	s_lshl_b64 s[8:9], s[8:9], 12
	v_and_or_b32 v3, 0xffffff1f, v3, 32
	v_add_co_u32 v9, vcc_lo, v9, s8
	v_add_co_ci_u32_e64 v10, null, s9, v10, vcc_lo
	s_mov_b32 s8, 0
	v_readfirstlane_b32 s12, v9
	s_mov_b32 s11, s8
	v_add_co_u32 v9, vcc_lo, v9, v29
	s_mov_b32 s9, s8
	s_mov_b32 s10, s8
	v_mov_b32_e32 v6, v5
	v_readfirstlane_b32 s13, v10
	v_mov_b32_e32 v14, s11
	v_add_co_ci_u32_e64 v10, null, 0, v10, vcc_lo
	v_mov_b32_e32 v13, s10
	v_mov_b32_e32 v12, s9
	;; [unrolled: 1-line block ×3, first 2 shown]
	global_store_dwordx4 v29, v[3:6], s[12:13]
	global_store_dwordx4 v29, v[11:14], s[12:13] offset:16
	global_store_dwordx4 v29, v[11:14], s[12:13] offset:32
	;; [unrolled: 1-line block ×3, first 2 shown]
	s_and_saveexec_b32 s1, s0
	s_cbranch_execz .LBB0_122
; %bb.115:
	v_mov_b32_e32 v11, 0
	v_mov_b32_e32 v12, s4
	;; [unrolled: 1-line block ×3, first 2 shown]
	s_clause 0x1
	global_load_dwordx2 v[14:15], v11, s[2:3] offset:32 glc dlc
	global_load_dwordx2 v[3:4], v11, s[2:3] offset:40
	s_waitcnt vmcnt(0)
	v_readfirstlane_b32 s8, v3
	v_readfirstlane_b32 s9, v4
	s_and_b64 s[8:9], s[8:9], s[4:5]
	s_mul_i32 s9, s9, 24
	s_mul_hi_u32 s10, s8, 24
	s_mul_i32 s8, s8, 24
	s_add_i32 s10, s10, s9
	v_add_co_u32 v7, vcc_lo, v7, s8
	v_add_co_ci_u32_e64 v8, null, s10, v8, vcc_lo
	s_mov_b32 s8, exec_lo
	global_store_dwordx2 v[7:8], v[14:15], off
	s_waitcnt_vscnt null, 0x0
	global_atomic_cmpswap_x2 v[5:6], v11, v[12:15], s[2:3] offset:32 glc
	s_waitcnt vmcnt(0)
	v_cmpx_ne_u64_e64 v[5:6], v[14:15]
	s_cbranch_execz .LBB0_118
; %bb.116:
	s_mov_b32 s9, 0
.LBB0_117:                              ; =>This Inner Loop Header: Depth=1
	v_mov_b32_e32 v3, s4
	v_mov_b32_e32 v4, s5
	s_sleep 1
	global_store_dwordx2 v[7:8], v[5:6], off
	s_waitcnt_vscnt null, 0x0
	global_atomic_cmpswap_x2 v[3:4], v11, v[3:6], s[2:3] offset:32 glc
	s_waitcnt vmcnt(0)
	v_cmp_eq_u64_e32 vcc_lo, v[3:4], v[5:6]
	v_mov_b32_e32 v6, v4
	v_mov_b32_e32 v5, v3
	s_or_b32 s9, vcc_lo, s9
	s_andn2_b32 exec_lo, exec_lo, s9
	s_cbranch_execnz .LBB0_117
.LBB0_118:
	s_or_b32 exec_lo, exec_lo, s8
	v_mov_b32_e32 v6, 0
	s_mov_b32 s9, exec_lo
	s_mov_b32 s8, exec_lo
	v_mbcnt_lo_u32_b32 v5, s9, 0
	global_load_dwordx2 v[3:4], v6, s[2:3] offset:16
	v_cmpx_eq_u32_e32 0, v5
	s_cbranch_execz .LBB0_120
; %bb.119:
	s_bcnt1_i32_b32 s9, s9
	v_mov_b32_e32 v5, s9
	s_waitcnt vmcnt(0)
	global_atomic_add_x2 v[3:4], v[5:6], off offset:8
.LBB0_120:
	s_or_b32 exec_lo, exec_lo, s8
	s_waitcnt vmcnt(0)
	global_load_dwordx2 v[5:6], v[3:4], off offset:16
	s_waitcnt vmcnt(0)
	v_cmp_eq_u64_e32 vcc_lo, 0, v[5:6]
	s_cbranch_vccnz .LBB0_122
; %bb.121:
	global_load_dword v3, v[3:4], off offset:24
	v_mov_b32_e32 v4, 0
	s_waitcnt vmcnt(0)
	v_readfirstlane_b32 s8, v3
	s_waitcnt_vscnt null, 0x0
	global_store_dwordx2 v[5:6], v[3:4], off
	s_and_b32 m0, s8, 0x7fffff
	s_sendmsg sendmsg(MSG_INTERRUPT)
.LBB0_122:
	s_or_b32 exec_lo, exec_lo, s1
	s_branch .LBB0_126
	.p2align	6
.LBB0_123:                              ;   in Loop: Header=BB0_126 Depth=1
	s_or_b32 exec_lo, exec_lo, s1
	v_readfirstlane_b32 s1, v3
	s_cmp_eq_u32 s1, 0
	s_cbranch_scc1 .LBB0_125
; %bb.124:                              ;   in Loop: Header=BB0_126 Depth=1
	s_sleep 1
	s_cbranch_execnz .LBB0_126
	s_branch .LBB0_128
	.p2align	6
.LBB0_125:
	s_branch .LBB0_128
.LBB0_126:                              ; =>This Inner Loop Header: Depth=1
	v_mov_b32_e32 v3, 1
	s_and_saveexec_b32 s1, s0
	s_cbranch_execz .LBB0_123
; %bb.127:                              ;   in Loop: Header=BB0_126 Depth=1
	global_load_dword v3, v[0:1], off offset:20 glc dlc
	s_waitcnt vmcnt(0)
	buffer_gl1_inv
	buffer_gl0_inv
	v_and_b32_e32 v3, 1, v3
	s_branch .LBB0_123
.LBB0_128:
	global_load_dwordx2 v[5:6], v[9:10], off
	s_and_saveexec_b32 s8, s0
	s_cbranch_execz .LBB0_132
; %bb.129:
	v_mov_b32_e32 v3, 0
	s_clause 0x2
	global_load_dwordx2 v[0:1], v3, s[2:3] offset:40
	global_load_dwordx2 v[11:12], v3, s[2:3] offset:24 glc dlc
	global_load_dwordx2 v[7:8], v3, s[2:3]
	s_waitcnt vmcnt(2)
	v_readfirstlane_b32 s10, v0
	v_readfirstlane_b32 s11, v1
	s_add_u32 s9, s10, 1
	s_addc_u32 s12, s11, 0
	s_add_u32 s0, s9, s4
	s_addc_u32 s1, s12, s5
	s_cmp_eq_u64 s[0:1], 0
	s_cselect_b32 s1, s12, s1
	s_cselect_b32 s0, s9, s0
	v_mov_b32_e32 v10, s1
	s_and_b64 s[4:5], s[0:1], s[10:11]
	v_mov_b32_e32 v9, s0
	s_mul_i32 s5, s5, 24
	s_mul_hi_u32 s9, s4, 24
	s_mul_i32 s4, s4, 24
	s_add_i32 s9, s9, s5
	s_waitcnt vmcnt(0)
	v_add_co_u32 v0, vcc_lo, v7, s4
	v_add_co_ci_u32_e64 v1, null, s9, v8, vcc_lo
	global_store_dwordx2 v[0:1], v[11:12], off
	s_waitcnt_vscnt null, 0x0
	global_atomic_cmpswap_x2 v[9:10], v3, v[9:12], s[2:3] offset:24 glc
	s_waitcnt vmcnt(0)
	v_cmp_ne_u64_e32 vcc_lo, v[9:10], v[11:12]
	s_and_b32 exec_lo, exec_lo, vcc_lo
	s_cbranch_execz .LBB0_132
; %bb.130:
	s_mov_b32 s4, 0
.LBB0_131:                              ; =>This Inner Loop Header: Depth=1
	v_mov_b32_e32 v7, s0
	v_mov_b32_e32 v8, s1
	s_sleep 1
	global_store_dwordx2 v[0:1], v[9:10], off
	s_waitcnt_vscnt null, 0x0
	global_atomic_cmpswap_x2 v[7:8], v3, v[7:10], s[2:3] offset:24 glc
	s_waitcnt vmcnt(0)
	v_cmp_eq_u64_e32 vcc_lo, v[7:8], v[9:10]
	v_mov_b32_e32 v10, v8
	v_mov_b32_e32 v9, v7
	s_or_b32 s4, vcc_lo, s4
	s_andn2_b32 exec_lo, exec_lo, s4
	s_cbranch_execnz .LBB0_131
.LBB0_132:
	s_or_b32 exec_lo, exec_lo, s8
.LBB0_133:
	v_readfirstlane_b32 s0, v30
	v_mov_b32_e32 v0, 0
	v_mov_b32_e32 v1, 0
	v_cmp_eq_u32_e64 s0, s0, v30
	s_and_saveexec_b32 s1, s0
	s_cbranch_execz .LBB0_139
; %bb.134:
	s_waitcnt vmcnt(0)
	v_mov_b32_e32 v3, 0
	s_mov_b32 s4, exec_lo
	global_load_dwordx2 v[9:10], v3, s[2:3] offset:24 glc dlc
	s_waitcnt vmcnt(0)
	buffer_gl1_inv
	buffer_gl0_inv
	s_clause 0x1
	global_load_dwordx2 v[0:1], v3, s[2:3] offset:40
	global_load_dwordx2 v[7:8], v3, s[2:3]
	s_waitcnt vmcnt(1)
	v_and_b32_e32 v1, v1, v10
	v_and_b32_e32 v0, v0, v9
	v_mul_lo_u32 v1, v1, 24
	v_mul_hi_u32 v4, v0, 24
	v_mul_lo_u32 v0, v0, 24
	v_add_nc_u32_e32 v1, v4, v1
	s_waitcnt vmcnt(0)
	v_add_co_u32 v0, vcc_lo, v7, v0
	v_add_co_ci_u32_e64 v1, null, v8, v1, vcc_lo
	global_load_dwordx2 v[7:8], v[0:1], off glc dlc
	s_waitcnt vmcnt(0)
	global_atomic_cmpswap_x2 v[0:1], v3, v[7:10], s[2:3] offset:24 glc
	s_waitcnt vmcnt(0)
	buffer_gl1_inv
	buffer_gl0_inv
	v_cmpx_ne_u64_e64 v[0:1], v[9:10]
	s_cbranch_execz .LBB0_138
; %bb.135:
	s_mov_b32 s5, 0
	.p2align	6
.LBB0_136:                              ; =>This Inner Loop Header: Depth=1
	s_sleep 1
	s_clause 0x1
	global_load_dwordx2 v[7:8], v3, s[2:3] offset:40
	global_load_dwordx2 v[11:12], v3, s[2:3]
	v_mov_b32_e32 v10, v1
	v_mov_b32_e32 v9, v0
	s_waitcnt vmcnt(1)
	v_and_b32_e32 v0, v7, v9
	v_and_b32_e32 v4, v8, v10
	s_waitcnt vmcnt(0)
	v_mad_u64_u32 v[0:1], null, v0, 24, v[11:12]
	v_mad_u64_u32 v[7:8], null, v4, 24, v[1:2]
	v_mov_b32_e32 v1, v7
	global_load_dwordx2 v[7:8], v[0:1], off glc dlc
	s_waitcnt vmcnt(0)
	global_atomic_cmpswap_x2 v[0:1], v3, v[7:10], s[2:3] offset:24 glc
	s_waitcnt vmcnt(0)
	buffer_gl1_inv
	buffer_gl0_inv
	v_cmp_eq_u64_e32 vcc_lo, v[0:1], v[9:10]
	s_or_b32 s5, vcc_lo, s5
	s_andn2_b32 exec_lo, exec_lo, s5
	s_cbranch_execnz .LBB0_136
; %bb.137:
	s_or_b32 exec_lo, exec_lo, s5
.LBB0_138:
	s_or_b32 exec_lo, exec_lo, s4
.LBB0_139:
	s_or_b32 exec_lo, exec_lo, s1
	v_mov_b32_e32 v8, 0
	v_readfirstlane_b32 s5, v1
	v_readfirstlane_b32 s4, v0
	s_mov_b32 s1, exec_lo
	s_clause 0x1
	global_load_dwordx2 v[3:4], v8, s[2:3] offset:40
	global_load_dwordx4 v[9:12], v8, s[2:3]
	s_waitcnt vmcnt(1)
	v_readfirstlane_b32 s8, v3
	v_readfirstlane_b32 s9, v4
	s_and_b64 s[8:9], s[8:9], s[4:5]
	s_mul_i32 s10, s9, 24
	s_mul_hi_u32 s11, s8, 24
	s_mul_i32 s12, s8, 24
	s_add_i32 s11, s11, s10
	s_waitcnt vmcnt(0)
	v_add_co_u32 v0, vcc_lo, v9, s12
	v_add_co_ci_u32_e64 v1, null, s11, v10, vcc_lo
	s_and_saveexec_b32 s10, s0
	s_cbranch_execz .LBB0_141
; %bb.140:
	v_mov_b32_e32 v7, s1
	v_mov_b32_e32 v14, v8
	;; [unrolled: 1-line block ×5, first 2 shown]
	global_store_dwordx4 v[0:1], v[13:16], off offset:8
.LBB0_141:
	s_or_b32 exec_lo, exec_lo, s10
	s_lshl_b64 s[8:9], s[8:9], 12
	v_and_or_b32 v5, 0xffffff1f, v5, 32
	v_add_co_u32 v3, vcc_lo, v11, s8
	v_add_co_ci_u32_e64 v4, null, s9, v12, vcc_lo
	s_mov_b32 s8, 0
	v_add_co_u32 v11, vcc_lo, v3, v29
	s_mov_b32 s11, s8
	s_mov_b32 s9, s8
	;; [unrolled: 1-line block ×3, first 2 shown]
	v_mov_b32_e32 v7, s6
	v_readfirstlane_b32 s12, v3
	v_readfirstlane_b32 s13, v4
	v_mov_b32_e32 v16, s11
	v_add_co_ci_u32_e64 v12, null, 0, v4, vcc_lo
	v_mov_b32_e32 v15, s10
	v_mov_b32_e32 v14, s9
	;; [unrolled: 1-line block ×3, first 2 shown]
	global_store_dwordx4 v29, v[5:8], s[12:13]
	global_store_dwordx4 v29, v[13:16], s[12:13] offset:16
	global_store_dwordx4 v29, v[13:16], s[12:13] offset:32
	;; [unrolled: 1-line block ×3, first 2 shown]
	s_and_saveexec_b32 s1, s0
	s_cbranch_execz .LBB0_149
; %bb.142:
	v_mov_b32_e32 v13, 0
	v_mov_b32_e32 v14, s4
	v_mov_b32_e32 v15, s5
	s_clause 0x1
	global_load_dwordx2 v[16:17], v13, s[2:3] offset:32 glc dlc
	global_load_dwordx2 v[3:4], v13, s[2:3] offset:40
	s_waitcnt vmcnt(0)
	v_readfirstlane_b32 s8, v3
	v_readfirstlane_b32 s9, v4
	s_and_b64 s[8:9], s[8:9], s[4:5]
	s_mul_i32 s9, s9, 24
	s_mul_hi_u32 s10, s8, 24
	s_mul_i32 s8, s8, 24
	s_add_i32 s10, s10, s9
	v_add_co_u32 v7, vcc_lo, v9, s8
	v_add_co_ci_u32_e64 v8, null, s10, v10, vcc_lo
	s_mov_b32 s8, exec_lo
	global_store_dwordx2 v[7:8], v[16:17], off
	s_waitcnt_vscnt null, 0x0
	global_atomic_cmpswap_x2 v[5:6], v13, v[14:17], s[2:3] offset:32 glc
	s_waitcnt vmcnt(0)
	v_cmpx_ne_u64_e64 v[5:6], v[16:17]
	s_cbranch_execz .LBB0_145
; %bb.143:
	s_mov_b32 s9, 0
.LBB0_144:                              ; =>This Inner Loop Header: Depth=1
	v_mov_b32_e32 v3, s4
	v_mov_b32_e32 v4, s5
	s_sleep 1
	global_store_dwordx2 v[7:8], v[5:6], off
	s_waitcnt_vscnt null, 0x0
	global_atomic_cmpswap_x2 v[3:4], v13, v[3:6], s[2:3] offset:32 glc
	s_waitcnt vmcnt(0)
	v_cmp_eq_u64_e32 vcc_lo, v[3:4], v[5:6]
	v_mov_b32_e32 v6, v4
	v_mov_b32_e32 v5, v3
	s_or_b32 s9, vcc_lo, s9
	s_andn2_b32 exec_lo, exec_lo, s9
	s_cbranch_execnz .LBB0_144
.LBB0_145:
	s_or_b32 exec_lo, exec_lo, s8
	v_mov_b32_e32 v6, 0
	s_mov_b32 s9, exec_lo
	s_mov_b32 s8, exec_lo
	v_mbcnt_lo_u32_b32 v5, s9, 0
	global_load_dwordx2 v[3:4], v6, s[2:3] offset:16
	v_cmpx_eq_u32_e32 0, v5
	s_cbranch_execz .LBB0_147
; %bb.146:
	s_bcnt1_i32_b32 s9, s9
	v_mov_b32_e32 v5, s9
	s_waitcnt vmcnt(0)
	global_atomic_add_x2 v[3:4], v[5:6], off offset:8
.LBB0_147:
	s_or_b32 exec_lo, exec_lo, s8
	s_waitcnt vmcnt(0)
	global_load_dwordx2 v[5:6], v[3:4], off offset:16
	s_waitcnt vmcnt(0)
	v_cmp_eq_u64_e32 vcc_lo, 0, v[5:6]
	s_cbranch_vccnz .LBB0_149
; %bb.148:
	global_load_dword v3, v[3:4], off offset:24
	v_mov_b32_e32 v4, 0
	s_waitcnt vmcnt(0)
	v_readfirstlane_b32 s8, v3
	s_waitcnt_vscnt null, 0x0
	global_store_dwordx2 v[5:6], v[3:4], off
	s_and_b32 m0, s8, 0x7fffff
	s_sendmsg sendmsg(MSG_INTERRUPT)
.LBB0_149:
	s_or_b32 exec_lo, exec_lo, s1
	s_branch .LBB0_153
	.p2align	6
.LBB0_150:                              ;   in Loop: Header=BB0_153 Depth=1
	s_or_b32 exec_lo, exec_lo, s1
	v_readfirstlane_b32 s1, v3
	s_cmp_eq_u32 s1, 0
	s_cbranch_scc1 .LBB0_152
; %bb.151:                              ;   in Loop: Header=BB0_153 Depth=1
	s_sleep 1
	s_cbranch_execnz .LBB0_153
	s_branch .LBB0_155
	.p2align	6
.LBB0_152:
	s_branch .LBB0_155
.LBB0_153:                              ; =>This Inner Loop Header: Depth=1
	v_mov_b32_e32 v3, 1
	s_and_saveexec_b32 s1, s0
	s_cbranch_execz .LBB0_150
; %bb.154:                              ;   in Loop: Header=BB0_153 Depth=1
	global_load_dword v3, v[0:1], off offset:20 glc dlc
	s_waitcnt vmcnt(0)
	buffer_gl1_inv
	buffer_gl0_inv
	v_and_b32_e32 v3, 1, v3
	s_branch .LBB0_150
.LBB0_155:
	global_load_dwordx2 v[0:1], v[11:12], off
	s_and_saveexec_b32 s8, s0
	s_cbranch_execz .LBB0_159
; %bb.156:
	v_mov_b32_e32 v9, 0
	s_clause 0x2
	global_load_dwordx2 v[3:4], v9, s[2:3] offset:40
	global_load_dwordx2 v[12:13], v9, s[2:3] offset:24 glc dlc
	global_load_dwordx2 v[5:6], v9, s[2:3]
	s_waitcnt vmcnt(2)
	v_readfirstlane_b32 s10, v3
	v_readfirstlane_b32 s11, v4
	s_add_u32 s9, s10, 1
	s_addc_u32 s12, s11, 0
	s_add_u32 s0, s9, s4
	s_addc_u32 s1, s12, s5
	s_cmp_eq_u64 s[0:1], 0
	s_cselect_b32 s1, s12, s1
	s_cselect_b32 s0, s9, s0
	v_mov_b32_e32 v11, s1
	s_and_b64 s[4:5], s[0:1], s[10:11]
	v_mov_b32_e32 v10, s0
	s_mul_i32 s5, s5, 24
	s_mul_hi_u32 s9, s4, 24
	s_mul_i32 s4, s4, 24
	s_add_i32 s9, s9, s5
	s_waitcnt vmcnt(0)
	v_add_co_u32 v7, vcc_lo, v5, s4
	v_add_co_ci_u32_e64 v8, null, s9, v6, vcc_lo
	global_store_dwordx2 v[7:8], v[12:13], off
	s_waitcnt_vscnt null, 0x0
	global_atomic_cmpswap_x2 v[5:6], v9, v[10:13], s[2:3] offset:24 glc
	s_waitcnt vmcnt(0)
	v_cmp_ne_u64_e32 vcc_lo, v[5:6], v[12:13]
	s_and_b32 exec_lo, exec_lo, vcc_lo
	s_cbranch_execz .LBB0_159
; %bb.157:
	s_mov_b32 s4, 0
.LBB0_158:                              ; =>This Inner Loop Header: Depth=1
	v_mov_b32_e32 v3, s0
	v_mov_b32_e32 v4, s1
	s_sleep 1
	global_store_dwordx2 v[7:8], v[5:6], off
	s_waitcnt_vscnt null, 0x0
	global_atomic_cmpswap_x2 v[3:4], v9, v[3:6], s[2:3] offset:24 glc
	s_waitcnt vmcnt(0)
	v_cmp_eq_u64_e32 vcc_lo, v[3:4], v[5:6]
	v_mov_b32_e32 v6, v4
	v_mov_b32_e32 v5, v3
	s_or_b32 s4, vcc_lo, s4
	s_andn2_b32 exec_lo, exec_lo, s4
	s_cbranch_execnz .LBB0_158
.LBB0_159:
	s_or_b32 exec_lo, exec_lo, s8
	v_readfirstlane_b32 s0, v30
	v_mov_b32_e32 v8, 0
	v_mov_b32_e32 v9, 0
	v_cmp_eq_u32_e64 s0, s0, v30
	s_and_saveexec_b32 s1, s0
	s_cbranch_execz .LBB0_165
; %bb.160:
	v_mov_b32_e32 v3, 0
	s_mov_b32 s4, exec_lo
	global_load_dwordx2 v[6:7], v3, s[2:3] offset:24 glc dlc
	s_waitcnt vmcnt(0)
	buffer_gl1_inv
	buffer_gl0_inv
	s_clause 0x1
	global_load_dwordx2 v[4:5], v3, s[2:3] offset:40
	global_load_dwordx2 v[8:9], v3, s[2:3]
	s_waitcnt vmcnt(1)
	v_and_b32_e32 v5, v5, v7
	v_and_b32_e32 v4, v4, v6
	v_mul_lo_u32 v5, v5, 24
	v_mul_hi_u32 v10, v4, 24
	v_mul_lo_u32 v4, v4, 24
	v_add_nc_u32_e32 v5, v10, v5
	s_waitcnt vmcnt(0)
	v_add_co_u32 v4, vcc_lo, v8, v4
	v_add_co_ci_u32_e64 v5, null, v9, v5, vcc_lo
	global_load_dwordx2 v[4:5], v[4:5], off glc dlc
	s_waitcnt vmcnt(0)
	global_atomic_cmpswap_x2 v[8:9], v3, v[4:7], s[2:3] offset:24 glc
	s_waitcnt vmcnt(0)
	buffer_gl1_inv
	buffer_gl0_inv
	v_cmpx_ne_u64_e64 v[8:9], v[6:7]
	s_cbranch_execz .LBB0_164
; %bb.161:
	s_mov_b32 s5, 0
	.p2align	6
.LBB0_162:                              ; =>This Inner Loop Header: Depth=1
	s_sleep 1
	s_clause 0x1
	global_load_dwordx2 v[4:5], v3, s[2:3] offset:40
	global_load_dwordx2 v[10:11], v3, s[2:3]
	v_mov_b32_e32 v6, v8
	v_mov_b32_e32 v7, v9
	s_waitcnt vmcnt(1)
	v_and_b32_e32 v4, v4, v6
	v_and_b32_e32 v5, v5, v7
	s_waitcnt vmcnt(0)
	v_mad_u64_u32 v[8:9], null, v4, 24, v[10:11]
	v_mov_b32_e32 v4, v9
	v_mad_u64_u32 v[4:5], null, v5, 24, v[4:5]
	v_mov_b32_e32 v9, v4
	global_load_dwordx2 v[4:5], v[8:9], off glc dlc
	s_waitcnt vmcnt(0)
	global_atomic_cmpswap_x2 v[8:9], v3, v[4:7], s[2:3] offset:24 glc
	s_waitcnt vmcnt(0)
	buffer_gl1_inv
	buffer_gl0_inv
	v_cmp_eq_u64_e32 vcc_lo, v[8:9], v[6:7]
	s_or_b32 s5, vcc_lo, s5
	s_andn2_b32 exec_lo, exec_lo, s5
	s_cbranch_execnz .LBB0_162
; %bb.163:
	s_or_b32 exec_lo, exec_lo, s5
.LBB0_164:
	s_or_b32 exec_lo, exec_lo, s4
.LBB0_165:
	s_or_b32 exec_lo, exec_lo, s1
	v_mov_b32_e32 v3, 0
	v_readfirstlane_b32 s5, v9
	v_readfirstlane_b32 s4, v8
	s_mov_b32 s1, exec_lo
	s_clause 0x1
	global_load_dwordx2 v[10:11], v3, s[2:3] offset:40
	global_load_dwordx4 v[4:7], v3, s[2:3]
	s_waitcnt vmcnt(1)
	v_readfirstlane_b32 s8, v10
	v_readfirstlane_b32 s9, v11
	s_and_b64 s[8:9], s[8:9], s[4:5]
	s_mul_i32 s10, s9, 24
	s_mul_hi_u32 s11, s8, 24
	s_mul_i32 s12, s8, 24
	s_add_i32 s11, s11, s10
	s_waitcnt vmcnt(0)
	v_add_co_u32 v8, vcc_lo, v4, s12
	v_add_co_ci_u32_e64 v9, null, s11, v5, vcc_lo
	s_and_saveexec_b32 s10, s0
	s_cbranch_execz .LBB0_167
; %bb.166:
	v_mov_b32_e32 v10, s1
	v_mov_b32_e32 v11, v3
	;; [unrolled: 1-line block ×4, first 2 shown]
	global_store_dwordx4 v[8:9], v[10:13], off offset:8
.LBB0_167:
	s_or_b32 exec_lo, exec_lo, s10
	s_lshl_b64 s[8:9], s[8:9], 12
	v_and_or_b32 v0, 0xffffff1f, v0, 32
	v_add_co_u32 v6, vcc_lo, v6, s8
	v_add_co_ci_u32_e64 v7, null, s9, v7, vcc_lo
	s_mov_b32 s8, 0
	v_readfirstlane_b32 s12, v6
	s_mov_b32 s11, s8
	v_add_co_u32 v6, vcc_lo, v6, v29
	s_mov_b32 s9, s8
	s_mov_b32 s10, s8
	v_readfirstlane_b32 s13, v7
	v_mov_b32_e32 v13, s11
	v_add_co_ci_u32_e64 v7, null, 0, v7, vcc_lo
	v_mov_b32_e32 v12, s10
	v_mov_b32_e32 v11, s9
	;; [unrolled: 1-line block ×3, first 2 shown]
	global_store_dwordx4 v29, v[0:3], s[12:13]
	global_store_dwordx4 v29, v[10:13], s[12:13] offset:16
	global_store_dwordx4 v29, v[10:13], s[12:13] offset:32
	;; [unrolled: 1-line block ×3, first 2 shown]
	s_and_saveexec_b32 s1, s0
	s_cbranch_execz .LBB0_175
; %bb.168:
	v_mov_b32_e32 v10, 0
	v_mov_b32_e32 v11, s4
	;; [unrolled: 1-line block ×3, first 2 shown]
	s_clause 0x1
	global_load_dwordx2 v[13:14], v10, s[2:3] offset:32 glc dlc
	global_load_dwordx2 v[0:1], v10, s[2:3] offset:40
	s_waitcnt vmcnt(0)
	v_readfirstlane_b32 s8, v0
	v_readfirstlane_b32 s9, v1
	s_and_b64 s[8:9], s[8:9], s[4:5]
	s_mul_i32 s9, s9, 24
	s_mul_hi_u32 s10, s8, 24
	s_mul_i32 s8, s8, 24
	s_add_i32 s10, s10, s9
	v_add_co_u32 v4, vcc_lo, v4, s8
	v_add_co_ci_u32_e64 v5, null, s10, v5, vcc_lo
	s_mov_b32 s8, exec_lo
	global_store_dwordx2 v[4:5], v[13:14], off
	s_waitcnt_vscnt null, 0x0
	global_atomic_cmpswap_x2 v[2:3], v10, v[11:14], s[2:3] offset:32 glc
	s_waitcnt vmcnt(0)
	v_cmpx_ne_u64_e64 v[2:3], v[13:14]
	s_cbranch_execz .LBB0_171
; %bb.169:
	s_mov_b32 s9, 0
.LBB0_170:                              ; =>This Inner Loop Header: Depth=1
	v_mov_b32_e32 v0, s4
	v_mov_b32_e32 v1, s5
	s_sleep 1
	global_store_dwordx2 v[4:5], v[2:3], off
	s_waitcnt_vscnt null, 0x0
	global_atomic_cmpswap_x2 v[0:1], v10, v[0:3], s[2:3] offset:32 glc
	s_waitcnt vmcnt(0)
	v_cmp_eq_u64_e32 vcc_lo, v[0:1], v[2:3]
	v_mov_b32_e32 v3, v1
	v_mov_b32_e32 v2, v0
	s_or_b32 s9, vcc_lo, s9
	s_andn2_b32 exec_lo, exec_lo, s9
	s_cbranch_execnz .LBB0_170
.LBB0_171:
	s_or_b32 exec_lo, exec_lo, s8
	v_mov_b32_e32 v3, 0
	s_mov_b32 s9, exec_lo
	s_mov_b32 s8, exec_lo
	v_mbcnt_lo_u32_b32 v2, s9, 0
	global_load_dwordx2 v[0:1], v3, s[2:3] offset:16
	v_cmpx_eq_u32_e32 0, v2
	s_cbranch_execz .LBB0_173
; %bb.172:
	s_bcnt1_i32_b32 s9, s9
	v_mov_b32_e32 v2, s9
	s_waitcnt vmcnt(0)
	global_atomic_add_x2 v[0:1], v[2:3], off offset:8
.LBB0_173:
	s_or_b32 exec_lo, exec_lo, s8
	s_waitcnt vmcnt(0)
	global_load_dwordx2 v[2:3], v[0:1], off offset:16
	s_waitcnt vmcnt(0)
	v_cmp_eq_u64_e32 vcc_lo, 0, v[2:3]
	s_cbranch_vccnz .LBB0_175
; %bb.174:
	global_load_dword v0, v[0:1], off offset:24
	v_mov_b32_e32 v1, 0
	s_waitcnt vmcnt(0)
	v_readfirstlane_b32 s8, v0
	s_waitcnt_vscnt null, 0x0
	global_store_dwordx2 v[2:3], v[0:1], off
	s_and_b32 m0, s8, 0x7fffff
	s_sendmsg sendmsg(MSG_INTERRUPT)
.LBB0_175:
	s_or_b32 exec_lo, exec_lo, s1
	s_branch .LBB0_179
	.p2align	6
.LBB0_176:                              ;   in Loop: Header=BB0_179 Depth=1
	s_or_b32 exec_lo, exec_lo, s1
	v_readfirstlane_b32 s1, v0
	s_cmp_eq_u32 s1, 0
	s_cbranch_scc1 .LBB0_178
; %bb.177:                              ;   in Loop: Header=BB0_179 Depth=1
	s_sleep 1
	s_cbranch_execnz .LBB0_179
	s_branch .LBB0_181
	.p2align	6
.LBB0_178:
	s_branch .LBB0_181
.LBB0_179:                              ; =>This Inner Loop Header: Depth=1
	v_mov_b32_e32 v0, 1
	s_and_saveexec_b32 s1, s0
	s_cbranch_execz .LBB0_176
; %bb.180:                              ;   in Loop: Header=BB0_179 Depth=1
	global_load_dword v0, v[8:9], off offset:20 glc dlc
	s_waitcnt vmcnt(0)
	buffer_gl1_inv
	buffer_gl0_inv
	v_and_b32_e32 v0, 1, v0
	s_branch .LBB0_176
.LBB0_181:
	global_load_dwordx2 v[0:1], v[6:7], off
	s_and_saveexec_b32 s8, s0
	s_cbranch_execz .LBB0_185
; %bb.182:
	v_mov_b32_e32 v8, 0
	s_clause 0x2
	global_load_dwordx2 v[2:3], v8, s[2:3] offset:40
	global_load_dwordx2 v[11:12], v8, s[2:3] offset:24 glc dlc
	global_load_dwordx2 v[4:5], v8, s[2:3]
	s_waitcnt vmcnt(2)
	v_readfirstlane_b32 s10, v2
	v_readfirstlane_b32 s11, v3
	s_add_u32 s9, s10, 1
	s_addc_u32 s12, s11, 0
	s_add_u32 s0, s9, s4
	s_addc_u32 s1, s12, s5
	s_cmp_eq_u64 s[0:1], 0
	s_cselect_b32 s1, s12, s1
	s_cselect_b32 s0, s9, s0
	v_mov_b32_e32 v10, s1
	s_and_b64 s[4:5], s[0:1], s[10:11]
	v_mov_b32_e32 v9, s0
	s_mul_i32 s5, s5, 24
	s_mul_hi_u32 s9, s4, 24
	s_mul_i32 s4, s4, 24
	s_add_i32 s9, s9, s5
	s_waitcnt vmcnt(0)
	v_add_co_u32 v6, vcc_lo, v4, s4
	v_add_co_ci_u32_e64 v7, null, s9, v5, vcc_lo
	global_store_dwordx2 v[6:7], v[11:12], off
	s_waitcnt_vscnt null, 0x0
	global_atomic_cmpswap_x2 v[4:5], v8, v[9:12], s[2:3] offset:24 glc
	s_waitcnt vmcnt(0)
	v_cmp_ne_u64_e32 vcc_lo, v[4:5], v[11:12]
	s_and_b32 exec_lo, exec_lo, vcc_lo
	s_cbranch_execz .LBB0_185
; %bb.183:
	s_mov_b32 s4, 0
.LBB0_184:                              ; =>This Inner Loop Header: Depth=1
	v_mov_b32_e32 v2, s0
	v_mov_b32_e32 v3, s1
	s_sleep 1
	global_store_dwordx2 v[6:7], v[4:5], off
	s_waitcnt_vscnt null, 0x0
	global_atomic_cmpswap_x2 v[2:3], v8, v[2:5], s[2:3] offset:24 glc
	s_waitcnt vmcnt(0)
	v_cmp_eq_u64_e32 vcc_lo, v[2:3], v[4:5]
	v_mov_b32_e32 v5, v3
	v_mov_b32_e32 v4, v2
	s_or_b32 s4, vcc_lo, s4
	s_andn2_b32 exec_lo, exec_lo, s4
	s_cbranch_execnz .LBB0_184
.LBB0_185:
	s_or_b32 exec_lo, exec_lo, s8
	v_readfirstlane_b32 s0, v30
	v_mov_b32_e32 v8, 0
	v_mov_b32_e32 v9, 0
	v_cmp_eq_u32_e64 s0, s0, v30
	s_and_saveexec_b32 s1, s0
	s_cbranch_execz .LBB0_191
; %bb.186:
	v_mov_b32_e32 v2, 0
	s_mov_b32 s4, exec_lo
	global_load_dwordx2 v[5:6], v2, s[2:3] offset:24 glc dlc
	s_waitcnt vmcnt(0)
	buffer_gl1_inv
	buffer_gl0_inv
	s_clause 0x1
	global_load_dwordx2 v[3:4], v2, s[2:3] offset:40
	global_load_dwordx2 v[7:8], v2, s[2:3]
	s_waitcnt vmcnt(1)
	v_and_b32_e32 v4, v4, v6
	v_and_b32_e32 v3, v3, v5
	v_mul_lo_u32 v4, v4, 24
	v_mul_hi_u32 v9, v3, 24
	v_mul_lo_u32 v3, v3, 24
	v_add_nc_u32_e32 v4, v9, v4
	s_waitcnt vmcnt(0)
	v_add_co_u32 v3, vcc_lo, v7, v3
	v_add_co_ci_u32_e64 v4, null, v8, v4, vcc_lo
	global_load_dwordx2 v[3:4], v[3:4], off glc dlc
	s_waitcnt vmcnt(0)
	global_atomic_cmpswap_x2 v[8:9], v2, v[3:6], s[2:3] offset:24 glc
	s_waitcnt vmcnt(0)
	buffer_gl1_inv
	buffer_gl0_inv
	v_cmpx_ne_u64_e64 v[8:9], v[5:6]
	s_cbranch_execz .LBB0_190
; %bb.187:
	s_mov_b32 s5, 0
	.p2align	6
.LBB0_188:                              ; =>This Inner Loop Header: Depth=1
	s_sleep 1
	s_clause 0x1
	global_load_dwordx2 v[3:4], v2, s[2:3] offset:40
	global_load_dwordx2 v[10:11], v2, s[2:3]
	v_mov_b32_e32 v5, v8
	v_mov_b32_e32 v6, v9
	s_waitcnt vmcnt(1)
	v_and_b32_e32 v3, v3, v5
	v_and_b32_e32 v4, v4, v6
	s_waitcnt vmcnt(0)
	v_mad_u64_u32 v[7:8], null, v3, 24, v[10:11]
	v_mov_b32_e32 v3, v8
	v_mad_u64_u32 v[3:4], null, v4, 24, v[3:4]
	v_mov_b32_e32 v8, v3
	global_load_dwordx2 v[3:4], v[7:8], off glc dlc
	s_waitcnt vmcnt(0)
	global_atomic_cmpswap_x2 v[8:9], v2, v[3:6], s[2:3] offset:24 glc
	s_waitcnt vmcnt(0)
	buffer_gl1_inv
	buffer_gl0_inv
	v_cmp_eq_u64_e32 vcc_lo, v[8:9], v[5:6]
	s_or_b32 s5, vcc_lo, s5
	s_andn2_b32 exec_lo, exec_lo, s5
	s_cbranch_execnz .LBB0_188
; %bb.189:
	s_or_b32 exec_lo, exec_lo, s5
.LBB0_190:
	s_or_b32 exec_lo, exec_lo, s4
.LBB0_191:
	s_or_b32 exec_lo, exec_lo, s1
	v_mov_b32_e32 v3, 0
	v_readfirstlane_b32 s5, v9
	v_readfirstlane_b32 s4, v8
	s_mov_b32 s1, exec_lo
	s_clause 0x1
	global_load_dwordx2 v[10:11], v3, s[2:3] offset:40
	global_load_dwordx4 v[4:7], v3, s[2:3]
	s_waitcnt vmcnt(1)
	v_readfirstlane_b32 s8, v10
	v_readfirstlane_b32 s9, v11
	s_and_b64 s[8:9], s[8:9], s[4:5]
	s_mul_i32 s10, s9, 24
	s_mul_hi_u32 s11, s8, 24
	s_mul_i32 s12, s8, 24
	s_add_i32 s11, s11, s10
	s_waitcnt vmcnt(0)
	v_add_co_u32 v8, vcc_lo, v4, s12
	v_add_co_ci_u32_e64 v9, null, s11, v5, vcc_lo
	s_and_saveexec_b32 s10, s0
	s_cbranch_execz .LBB0_193
; %bb.192:
	v_mov_b32_e32 v2, s1
	v_mov_b32_e32 v11, v3
	;; [unrolled: 1-line block ×5, first 2 shown]
	global_store_dwordx4 v[8:9], v[10:13], off offset:8
.LBB0_193:
	s_or_b32 exec_lo, exec_lo, s10
	s_lshl_b64 s[8:9], s[8:9], 12
	v_and_or_b32 v0, 0xffffff1f, v0, 32
	v_add_co_u32 v6, vcc_lo, v6, s8
	v_add_co_ci_u32_e64 v7, null, s9, v7, vcc_lo
	s_mov_b32 s8, 0
	v_readfirstlane_b32 s12, v6
	s_mov_b32 s11, s8
	v_add_co_u32 v6, vcc_lo, v6, v29
	s_mov_b32 s9, s8
	s_mov_b32 s10, s8
	v_mov_b32_e32 v2, s6
	v_readfirstlane_b32 s13, v7
	v_mov_b32_e32 v13, s11
	v_add_co_ci_u32_e64 v7, null, 0, v7, vcc_lo
	v_mov_b32_e32 v12, s10
	v_mov_b32_e32 v11, s9
	;; [unrolled: 1-line block ×3, first 2 shown]
	global_store_dwordx4 v29, v[0:3], s[12:13]
	global_store_dwordx4 v29, v[10:13], s[12:13] offset:16
	global_store_dwordx4 v29, v[10:13], s[12:13] offset:32
	;; [unrolled: 1-line block ×3, first 2 shown]
	s_and_saveexec_b32 s1, s0
	s_cbranch_execz .LBB0_201
; %bb.194:
	v_mov_b32_e32 v10, 0
	v_mov_b32_e32 v11, s4
	;; [unrolled: 1-line block ×3, first 2 shown]
	s_clause 0x1
	global_load_dwordx2 v[13:14], v10, s[2:3] offset:32 glc dlc
	global_load_dwordx2 v[0:1], v10, s[2:3] offset:40
	s_waitcnt vmcnt(0)
	v_readfirstlane_b32 s8, v0
	v_readfirstlane_b32 s9, v1
	s_and_b64 s[8:9], s[8:9], s[4:5]
	s_mul_i32 s6, s9, 24
	s_mul_hi_u32 s9, s8, 24
	s_mul_i32 s8, s8, 24
	s_add_i32 s9, s9, s6
	v_add_co_u32 v4, vcc_lo, v4, s8
	v_add_co_ci_u32_e64 v5, null, s9, v5, vcc_lo
	s_mov_b32 s6, exec_lo
	global_store_dwordx2 v[4:5], v[13:14], off
	s_waitcnt_vscnt null, 0x0
	global_atomic_cmpswap_x2 v[2:3], v10, v[11:14], s[2:3] offset:32 glc
	s_waitcnt vmcnt(0)
	v_cmpx_ne_u64_e64 v[2:3], v[13:14]
	s_cbranch_execz .LBB0_197
; %bb.195:
	s_mov_b32 s8, 0
.LBB0_196:                              ; =>This Inner Loop Header: Depth=1
	v_mov_b32_e32 v0, s4
	v_mov_b32_e32 v1, s5
	s_sleep 1
	global_store_dwordx2 v[4:5], v[2:3], off
	s_waitcnt_vscnt null, 0x0
	global_atomic_cmpswap_x2 v[0:1], v10, v[0:3], s[2:3] offset:32 glc
	s_waitcnt vmcnt(0)
	v_cmp_eq_u64_e32 vcc_lo, v[0:1], v[2:3]
	v_mov_b32_e32 v3, v1
	v_mov_b32_e32 v2, v0
	s_or_b32 s8, vcc_lo, s8
	s_andn2_b32 exec_lo, exec_lo, s8
	s_cbranch_execnz .LBB0_196
.LBB0_197:
	s_or_b32 exec_lo, exec_lo, s6
	v_mov_b32_e32 v3, 0
	s_mov_b32 s8, exec_lo
	s_mov_b32 s6, exec_lo
	v_mbcnt_lo_u32_b32 v2, s8, 0
	global_load_dwordx2 v[0:1], v3, s[2:3] offset:16
	v_cmpx_eq_u32_e32 0, v2
	s_cbranch_execz .LBB0_199
; %bb.198:
	s_bcnt1_i32_b32 s8, s8
	v_mov_b32_e32 v2, s8
	s_waitcnt vmcnt(0)
	global_atomic_add_x2 v[0:1], v[2:3], off offset:8
.LBB0_199:
	s_or_b32 exec_lo, exec_lo, s6
	s_waitcnt vmcnt(0)
	global_load_dwordx2 v[2:3], v[0:1], off offset:16
	s_waitcnt vmcnt(0)
	v_cmp_eq_u64_e32 vcc_lo, 0, v[2:3]
	s_cbranch_vccnz .LBB0_201
; %bb.200:
	global_load_dword v0, v[0:1], off offset:24
	v_mov_b32_e32 v1, 0
	s_waitcnt vmcnt(0)
	v_readfirstlane_b32 s6, v0
	s_waitcnt_vscnt null, 0x0
	global_store_dwordx2 v[2:3], v[0:1], off
	s_and_b32 m0, s6, 0x7fffff
	s_sendmsg sendmsg(MSG_INTERRUPT)
.LBB0_201:
	s_or_b32 exec_lo, exec_lo, s1
	s_branch .LBB0_205
	.p2align	6
.LBB0_202:                              ;   in Loop: Header=BB0_205 Depth=1
	s_or_b32 exec_lo, exec_lo, s1
	v_readfirstlane_b32 s1, v0
	s_cmp_eq_u32 s1, 0
	s_cbranch_scc1 .LBB0_204
; %bb.203:                              ;   in Loop: Header=BB0_205 Depth=1
	s_sleep 1
	s_cbranch_execnz .LBB0_205
	s_branch .LBB0_207
	.p2align	6
.LBB0_204:
	s_branch .LBB0_207
.LBB0_205:                              ; =>This Inner Loop Header: Depth=1
	v_mov_b32_e32 v0, 1
	s_and_saveexec_b32 s1, s0
	s_cbranch_execz .LBB0_202
; %bb.206:                              ;   in Loop: Header=BB0_205 Depth=1
	global_load_dword v0, v[8:9], off offset:20 glc dlc
	s_waitcnt vmcnt(0)
	buffer_gl1_inv
	buffer_gl0_inv
	v_and_b32_e32 v0, 1, v0
	s_branch .LBB0_202
.LBB0_207:
	global_load_dwordx2 v[0:1], v[6:7], off
	s_and_saveexec_b32 s6, s0
	s_cbranch_execz .LBB0_211
; %bb.208:
	v_mov_b32_e32 v8, 0
	s_clause 0x2
	global_load_dwordx2 v[2:3], v8, s[2:3] offset:40
	global_load_dwordx2 v[11:12], v8, s[2:3] offset:24 glc dlc
	global_load_dwordx2 v[4:5], v8, s[2:3]
	s_waitcnt vmcnt(2)
	v_readfirstlane_b32 s8, v2
	v_readfirstlane_b32 s9, v3
	s_add_u32 s10, s8, 1
	s_addc_u32 s11, s9, 0
	s_add_u32 s0, s10, s4
	s_addc_u32 s1, s11, s5
	s_cmp_eq_u64 s[0:1], 0
	s_cselect_b32 s1, s11, s1
	s_cselect_b32 s0, s10, s0
	v_mov_b32_e32 v10, s1
	s_and_b64 s[4:5], s[0:1], s[8:9]
	v_mov_b32_e32 v9, s0
	s_mul_i32 s5, s5, 24
	s_mul_hi_u32 s8, s4, 24
	s_mul_i32 s4, s4, 24
	s_add_i32 s8, s8, s5
	s_waitcnt vmcnt(0)
	v_add_co_u32 v6, vcc_lo, v4, s4
	v_add_co_ci_u32_e64 v7, null, s8, v5, vcc_lo
	global_store_dwordx2 v[6:7], v[11:12], off
	s_waitcnt_vscnt null, 0x0
	global_atomic_cmpswap_x2 v[4:5], v8, v[9:12], s[2:3] offset:24 glc
	s_waitcnt vmcnt(0)
	v_cmp_ne_u64_e32 vcc_lo, v[4:5], v[11:12]
	s_and_b32 exec_lo, exec_lo, vcc_lo
	s_cbranch_execz .LBB0_211
; %bb.209:
	s_mov_b32 s4, 0
.LBB0_210:                              ; =>This Inner Loop Header: Depth=1
	v_mov_b32_e32 v2, s0
	v_mov_b32_e32 v3, s1
	s_sleep 1
	global_store_dwordx2 v[6:7], v[4:5], off
	s_waitcnt_vscnt null, 0x0
	global_atomic_cmpswap_x2 v[2:3], v8, v[2:5], s[2:3] offset:24 glc
	s_waitcnt vmcnt(0)
	v_cmp_eq_u64_e32 vcc_lo, v[2:3], v[4:5]
	v_mov_b32_e32 v5, v3
	v_mov_b32_e32 v4, v2
	s_or_b32 s4, vcc_lo, s4
	s_andn2_b32 exec_lo, exec_lo, s4
	s_cbranch_execnz .LBB0_210
.LBB0_211:
	s_or_b32 exec_lo, exec_lo, s6
	v_readfirstlane_b32 s0, v30
	v_mov_b32_e32 v8, 0
	v_mov_b32_e32 v9, 0
	v_cmp_eq_u32_e64 s0, s0, v30
	s_and_saveexec_b32 s1, s0
	s_cbranch_execz .LBB0_217
; %bb.212:
	v_mov_b32_e32 v2, 0
	s_mov_b32 s4, exec_lo
	global_load_dwordx2 v[5:6], v2, s[2:3] offset:24 glc dlc
	s_waitcnt vmcnt(0)
	buffer_gl1_inv
	buffer_gl0_inv
	s_clause 0x1
	global_load_dwordx2 v[3:4], v2, s[2:3] offset:40
	global_load_dwordx2 v[7:8], v2, s[2:3]
	s_waitcnt vmcnt(1)
	v_and_b32_e32 v4, v4, v6
	v_and_b32_e32 v3, v3, v5
	v_mul_lo_u32 v4, v4, 24
	v_mul_hi_u32 v9, v3, 24
	v_mul_lo_u32 v3, v3, 24
	v_add_nc_u32_e32 v4, v9, v4
	s_waitcnt vmcnt(0)
	v_add_co_u32 v3, vcc_lo, v7, v3
	v_add_co_ci_u32_e64 v4, null, v8, v4, vcc_lo
	global_load_dwordx2 v[3:4], v[3:4], off glc dlc
	s_waitcnt vmcnt(0)
	global_atomic_cmpswap_x2 v[8:9], v2, v[3:6], s[2:3] offset:24 glc
	s_waitcnt vmcnt(0)
	buffer_gl1_inv
	buffer_gl0_inv
	v_cmpx_ne_u64_e64 v[8:9], v[5:6]
	s_cbranch_execz .LBB0_216
; %bb.213:
	s_mov_b32 s5, 0
	.p2align	6
.LBB0_214:                              ; =>This Inner Loop Header: Depth=1
	s_sleep 1
	s_clause 0x1
	global_load_dwordx2 v[3:4], v2, s[2:3] offset:40
	global_load_dwordx2 v[10:11], v2, s[2:3]
	v_mov_b32_e32 v5, v8
	v_mov_b32_e32 v6, v9
	s_waitcnt vmcnt(1)
	v_and_b32_e32 v3, v3, v5
	v_and_b32_e32 v4, v4, v6
	s_waitcnt vmcnt(0)
	v_mad_u64_u32 v[7:8], null, v3, 24, v[10:11]
	v_mov_b32_e32 v3, v8
	v_mad_u64_u32 v[3:4], null, v4, 24, v[3:4]
	v_mov_b32_e32 v8, v3
	global_load_dwordx2 v[3:4], v[7:8], off glc dlc
	s_waitcnt vmcnt(0)
	global_atomic_cmpswap_x2 v[8:9], v2, v[3:6], s[2:3] offset:24 glc
	s_waitcnt vmcnt(0)
	buffer_gl1_inv
	buffer_gl0_inv
	v_cmp_eq_u64_e32 vcc_lo, v[8:9], v[5:6]
	s_or_b32 s5, vcc_lo, s5
	s_andn2_b32 exec_lo, exec_lo, s5
	s_cbranch_execnz .LBB0_214
; %bb.215:
	s_or_b32 exec_lo, exec_lo, s5
.LBB0_216:
	s_or_b32 exec_lo, exec_lo, s4
.LBB0_217:
	s_or_b32 exec_lo, exec_lo, s1
	v_mov_b32_e32 v3, 0
	v_readfirstlane_b32 s5, v9
	v_readfirstlane_b32 s4, v8
	s_mov_b32 s1, exec_lo
	s_clause 0x1
	global_load_dwordx2 v[10:11], v3, s[2:3] offset:40
	global_load_dwordx4 v[4:7], v3, s[2:3]
	s_waitcnt vmcnt(1)
	v_readfirstlane_b32 s8, v10
	v_readfirstlane_b32 s9, v11
	s_and_b64 s[8:9], s[8:9], s[4:5]
	s_mul_i32 s6, s9, 24
	s_mul_hi_u32 s10, s8, 24
	s_mul_i32 s11, s8, 24
	s_add_i32 s10, s10, s6
	s_waitcnt vmcnt(0)
	v_add_co_u32 v8, vcc_lo, v4, s11
	v_add_co_ci_u32_e64 v9, null, s10, v5, vcc_lo
	s_and_saveexec_b32 s6, s0
	s_cbranch_execz .LBB0_219
; %bb.218:
	v_mov_b32_e32 v2, s1
	v_mov_b32_e32 v11, v3
	;; [unrolled: 1-line block ×5, first 2 shown]
	global_store_dwordx4 v[8:9], v[10:13], off offset:8
.LBB0_219:
	s_or_b32 exec_lo, exec_lo, s6
	s_lshl_b64 s[8:9], s[8:9], 12
	v_and_or_b32 v0, 0xffffff1d, v0, 34
	v_add_co_u32 v6, vcc_lo, v6, s8
	v_add_co_ci_u32_e64 v7, null, s9, v7, vcc_lo
	s_mov_b32 s8, 0
	v_mov_b32_e32 v2, s7
	s_mov_b32 s11, s8
	s_mov_b32 s9, s8
	;; [unrolled: 1-line block ×3, first 2 shown]
	v_readfirstlane_b32 s6, v6
	v_readfirstlane_b32 s7, v7
	v_mov_b32_e32 v13, s11
	v_mov_b32_e32 v12, s10
	;; [unrolled: 1-line block ×4, first 2 shown]
	global_store_dwordx4 v29, v[0:3], s[6:7]
	global_store_dwordx4 v29, v[10:13], s[6:7] offset:16
	global_store_dwordx4 v29, v[10:13], s[6:7] offset:32
	;; [unrolled: 1-line block ×3, first 2 shown]
	s_and_saveexec_b32 s1, s0
	s_cbranch_execz .LBB0_227
; %bb.220:
	v_mov_b32_e32 v6, 0
	v_mov_b32_e32 v10, s4
	;; [unrolled: 1-line block ×3, first 2 shown]
	s_clause 0x1
	global_load_dwordx2 v[12:13], v6, s[2:3] offset:32 glc dlc
	global_load_dwordx2 v[0:1], v6, s[2:3] offset:40
	s_waitcnt vmcnt(0)
	v_readfirstlane_b32 s6, v0
	v_readfirstlane_b32 s7, v1
	s_and_b64 s[6:7], s[6:7], s[4:5]
	s_mul_i32 s7, s7, 24
	s_mul_hi_u32 s8, s6, 24
	s_mul_i32 s6, s6, 24
	s_add_i32 s8, s8, s7
	v_add_co_u32 v4, vcc_lo, v4, s6
	v_add_co_ci_u32_e64 v5, null, s8, v5, vcc_lo
	s_mov_b32 s6, exec_lo
	global_store_dwordx2 v[4:5], v[12:13], off
	s_waitcnt_vscnt null, 0x0
	global_atomic_cmpswap_x2 v[2:3], v6, v[10:13], s[2:3] offset:32 glc
	s_waitcnt vmcnt(0)
	v_cmpx_ne_u64_e64 v[2:3], v[12:13]
	s_cbranch_execz .LBB0_223
; %bb.221:
	s_mov_b32 s7, 0
.LBB0_222:                              ; =>This Inner Loop Header: Depth=1
	v_mov_b32_e32 v0, s4
	v_mov_b32_e32 v1, s5
	s_sleep 1
	global_store_dwordx2 v[4:5], v[2:3], off
	s_waitcnt_vscnt null, 0x0
	global_atomic_cmpswap_x2 v[0:1], v6, v[0:3], s[2:3] offset:32 glc
	s_waitcnt vmcnt(0)
	v_cmp_eq_u64_e32 vcc_lo, v[0:1], v[2:3]
	v_mov_b32_e32 v3, v1
	v_mov_b32_e32 v2, v0
	s_or_b32 s7, vcc_lo, s7
	s_andn2_b32 exec_lo, exec_lo, s7
	s_cbranch_execnz .LBB0_222
.LBB0_223:
	s_or_b32 exec_lo, exec_lo, s6
	v_mov_b32_e32 v3, 0
	s_mov_b32 s7, exec_lo
	s_mov_b32 s6, exec_lo
	v_mbcnt_lo_u32_b32 v2, s7, 0
	global_load_dwordx2 v[0:1], v3, s[2:3] offset:16
	v_cmpx_eq_u32_e32 0, v2
	s_cbranch_execz .LBB0_225
; %bb.224:
	s_bcnt1_i32_b32 s7, s7
	v_mov_b32_e32 v2, s7
	s_waitcnt vmcnt(0)
	global_atomic_add_x2 v[0:1], v[2:3], off offset:8
.LBB0_225:
	s_or_b32 exec_lo, exec_lo, s6
	s_waitcnt vmcnt(0)
	global_load_dwordx2 v[2:3], v[0:1], off offset:16
	s_waitcnt vmcnt(0)
	v_cmp_eq_u64_e32 vcc_lo, 0, v[2:3]
	s_cbranch_vccnz .LBB0_227
; %bb.226:
	global_load_dword v0, v[0:1], off offset:24
	v_mov_b32_e32 v1, 0
	s_waitcnt vmcnt(0)
	v_readfirstlane_b32 s6, v0
	s_waitcnt_vscnt null, 0x0
	global_store_dwordx2 v[2:3], v[0:1], off
	s_and_b32 m0, s6, 0x7fffff
	s_sendmsg sendmsg(MSG_INTERRUPT)
.LBB0_227:
	s_or_b32 exec_lo, exec_lo, s1
	s_branch .LBB0_231
	.p2align	6
.LBB0_228:                              ;   in Loop: Header=BB0_231 Depth=1
	s_or_b32 exec_lo, exec_lo, s1
	v_readfirstlane_b32 s1, v0
	s_cmp_eq_u32 s1, 0
	s_cbranch_scc1 .LBB0_230
; %bb.229:                              ;   in Loop: Header=BB0_231 Depth=1
	s_sleep 1
	s_cbranch_execnz .LBB0_231
	s_branch .LBB0_233
	.p2align	6
.LBB0_230:
	s_branch .LBB0_233
.LBB0_231:                              ; =>This Inner Loop Header: Depth=1
	v_mov_b32_e32 v0, 1
	s_and_saveexec_b32 s1, s0
	s_cbranch_execz .LBB0_228
; %bb.232:                              ;   in Loop: Header=BB0_231 Depth=1
	global_load_dword v0, v[8:9], off offset:20 glc dlc
	s_waitcnt vmcnt(0)
	buffer_gl1_inv
	buffer_gl0_inv
	v_and_b32_e32 v0, 1, v0
	s_branch .LBB0_228
.LBB0_233:
	s_and_saveexec_b32 s1, s0
	s_cbranch_execz .LBB0_237
; %bb.234:
	v_mov_b32_e32 v6, 0
	s_clause 0x2
	global_load_dwordx2 v[0:1], v6, s[2:3] offset:40
	global_load_dwordx2 v[9:10], v6, s[2:3] offset:24 glc dlc
	global_load_dwordx2 v[2:3], v6, s[2:3]
	s_waitcnt vmcnt(2)
	v_readfirstlane_b32 s6, v0
	v_readfirstlane_b32 s7, v1
	s_add_u32 s8, s6, 1
	s_addc_u32 s9, s7, 0
	s_add_u32 s0, s8, s4
	s_addc_u32 s1, s9, s5
	s_cmp_eq_u64 s[0:1], 0
	s_cselect_b32 s1, s9, s1
	s_cselect_b32 s0, s8, s0
	v_mov_b32_e32 v8, s1
	s_and_b64 s[4:5], s[0:1], s[6:7]
	v_mov_b32_e32 v7, s0
	s_mul_i32 s5, s5, 24
	s_mul_hi_u32 s6, s4, 24
	s_mul_i32 s4, s4, 24
	s_add_i32 s6, s6, s5
	s_waitcnt vmcnt(0)
	v_add_co_u32 v4, vcc_lo, v2, s4
	v_add_co_ci_u32_e64 v5, null, s6, v3, vcc_lo
	global_store_dwordx2 v[4:5], v[9:10], off
	s_waitcnt_vscnt null, 0x0
	global_atomic_cmpswap_x2 v[2:3], v6, v[7:10], s[2:3] offset:24 glc
	s_waitcnt vmcnt(0)
	v_cmp_ne_u64_e32 vcc_lo, v[2:3], v[9:10]
	s_and_b32 exec_lo, exec_lo, vcc_lo
	s_cbranch_execz .LBB0_237
; %bb.235:
	s_mov_b32 s4, 0
.LBB0_236:                              ; =>This Inner Loop Header: Depth=1
	v_mov_b32_e32 v0, s0
	v_mov_b32_e32 v1, s1
	s_sleep 1
	global_store_dwordx2 v[4:5], v[2:3], off
	s_waitcnt_vscnt null, 0x0
	global_atomic_cmpswap_x2 v[0:1], v6, v[0:3], s[2:3] offset:24 glc
	s_waitcnt vmcnt(0)
	v_cmp_eq_u64_e32 vcc_lo, v[0:1], v[2:3]
	v_mov_b32_e32 v3, v1
	v_mov_b32_e32 v2, v0
	s_or_b32 s4, vcc_lo, s4
	s_andn2_b32 exec_lo, exec_lo, s4
	s_cbranch_execnz .LBB0_236
.LBB0_237:
	s_endpgm
	.section	.rodata,"a",@progbits
	.p2align	6, 0x0
	.amdhsa_kernel _Z9gpuKernelv
		.amdhsa_group_segment_fixed_size 0
		.amdhsa_private_segment_fixed_size 0
		.amdhsa_kernarg_size 256
		.amdhsa_user_sgpr_count 6
		.amdhsa_user_sgpr_private_segment_buffer 1
		.amdhsa_user_sgpr_dispatch_ptr 0
		.amdhsa_user_sgpr_queue_ptr 0
		.amdhsa_user_sgpr_kernarg_segment_ptr 1
		.amdhsa_user_sgpr_dispatch_id 0
		.amdhsa_user_sgpr_flat_scratch_init 0
		.amdhsa_user_sgpr_private_segment_size 0
		.amdhsa_wavefront_size32 1
		.amdhsa_uses_dynamic_stack 0
		.amdhsa_system_sgpr_private_segment_wavefront_offset 0
		.amdhsa_system_sgpr_workgroup_id_x 1
		.amdhsa_system_sgpr_workgroup_id_y 1
		.amdhsa_system_sgpr_workgroup_id_z 0
		.amdhsa_system_sgpr_workgroup_info 0
		.amdhsa_system_vgpr_workitem_id 1
		.amdhsa_next_free_vgpr 34
		.amdhsa_next_free_sgpr 20
		.amdhsa_reserve_vcc 1
		.amdhsa_reserve_flat_scratch 0
		.amdhsa_float_round_mode_32 0
		.amdhsa_float_round_mode_16_64 0
		.amdhsa_float_denorm_mode_32 3
		.amdhsa_float_denorm_mode_16_64 3
		.amdhsa_dx10_clamp 1
		.amdhsa_ieee_mode 1
		.amdhsa_fp16_overflow 0
		.amdhsa_workgroup_processor_mode 1
		.amdhsa_memory_ordered 1
		.amdhsa_forward_progress 1
		.amdhsa_shared_vgpr_count 0
		.amdhsa_exception_fp_ieee_invalid_op 0
		.amdhsa_exception_fp_denorm_src 0
		.amdhsa_exception_fp_ieee_div_zero 0
		.amdhsa_exception_fp_ieee_overflow 0
		.amdhsa_exception_fp_ieee_underflow 0
		.amdhsa_exception_fp_ieee_inexact 0
		.amdhsa_exception_int_div_zero 0
	.end_amdhsa_kernel
	.text
.Lfunc_end0:
	.size	_Z9gpuKernelv, .Lfunc_end0-_Z9gpuKernelv
                                        ; -- End function
	.set _Z9gpuKernelv.num_vgpr, 34
	.set _Z9gpuKernelv.num_agpr, 0
	.set _Z9gpuKernelv.numbered_sgpr, 20
	.set _Z9gpuKernelv.num_named_barrier, 0
	.set _Z9gpuKernelv.private_seg_size, 0
	.set _Z9gpuKernelv.uses_vcc, 1
	.set _Z9gpuKernelv.uses_flat_scratch, 0
	.set _Z9gpuKernelv.has_dyn_sized_stack, 0
	.set _Z9gpuKernelv.has_recursion, 0
	.set _Z9gpuKernelv.has_indirect_call, 0
	.section	.AMDGPU.csdata,"",@progbits
; Kernel info:
; codeLenInByte = 10460
; TotalNumSgprs: 22
; NumVgprs: 34
; ScratchSize: 0
; MemoryBound: 0
; FloatMode: 240
; IeeeMode: 1
; LDSByteSize: 0 bytes/workgroup (compile time only)
; SGPRBlocks: 0
; VGPRBlocks: 4
; NumSGPRsForWavesPerEU: 22
; NumVGPRsForWavesPerEU: 34
; Occupancy: 16
; WaveLimiterHint : 1
; COMPUTE_PGM_RSRC2:SCRATCH_EN: 0
; COMPUTE_PGM_RSRC2:USER_SGPR: 6
; COMPUTE_PGM_RSRC2:TRAP_HANDLER: 0
; COMPUTE_PGM_RSRC2:TGID_X_EN: 1
; COMPUTE_PGM_RSRC2:TGID_Y_EN: 1
; COMPUTE_PGM_RSRC2:TGID_Z_EN: 0
; COMPUTE_PGM_RSRC2:TIDIG_COMP_CNT: 1
	.section	.text._ZN4RAJA28launch_new_reduce_global_fcnIZ4mainEUlNS_14LaunchContextTINS_3hip33LaunchContextIndicesAndDimsPolicyINS2_14IndicesAndDimsILb0ELb0ELb0ELb0EEEEEEEE_NS_4expt15ForallParamPackIJEEEEEvT_T0_,"axG",@progbits,_ZN4RAJA28launch_new_reduce_global_fcnIZ4mainEUlNS_14LaunchContextTINS_3hip33LaunchContextIndicesAndDimsPolicyINS2_14IndicesAndDimsILb0ELb0ELb0ELb0EEEEEEEE_NS_4expt15ForallParamPackIJEEEEEvT_T0_,comdat
	.globl	_ZN4RAJA28launch_new_reduce_global_fcnIZ4mainEUlNS_14LaunchContextTINS_3hip33LaunchContextIndicesAndDimsPolicyINS2_14IndicesAndDimsILb0ELb0ELb0ELb0EEEEEEEE_NS_4expt15ForallParamPackIJEEEEEvT_T0_ ; -- Begin function _ZN4RAJA28launch_new_reduce_global_fcnIZ4mainEUlNS_14LaunchContextTINS_3hip33LaunchContextIndicesAndDimsPolicyINS2_14IndicesAndDimsILb0ELb0ELb0ELb0EEEEEEEE_NS_4expt15ForallParamPackIJEEEEEvT_T0_
	.p2align	8
	.type	_ZN4RAJA28launch_new_reduce_global_fcnIZ4mainEUlNS_14LaunchContextTINS_3hip33LaunchContextIndicesAndDimsPolicyINS2_14IndicesAndDimsILb0ELb0ELb0ELb0EEEEEEEE_NS_4expt15ForallParamPackIJEEEEEvT_T0_,@function
_ZN4RAJA28launch_new_reduce_global_fcnIZ4mainEUlNS_14LaunchContextTINS_3hip33LaunchContextIndicesAndDimsPolicyINS2_14IndicesAndDimsILb0ELb0ELb0ELb0EEEEEEEE_NS_4expt15ForallParamPackIJEEEEEvT_T0_: ; @_ZN4RAJA28launch_new_reduce_global_fcnIZ4mainEUlNS_14LaunchContextTINS_3hip33LaunchContextIndicesAndDimsPolicyINS2_14IndicesAndDimsILb0ELb0ELb0ELb0EEEEEEEE_NS_4expt15ForallParamPackIJEEEEEvT_T0_
; %bb.0:
	s_cmp_gt_i32 s7, 1
	s_cbranch_scc1 .LBB1_241
; %bb.1:
	s_cmp_gt_i32 s6, 1
	s_cbranch_scc1 .LBB1_241
; %bb.2:
	v_mov_b32_e32 v2, v1
	s_mov_b32 s0, exec_lo
	v_cmpx_gt_u32_e32 2, v2
	s_cbranch_execz .LBB1_241
; %bb.3:
	v_cmp_gt_u32_e32 vcc_lo, 2, v0
	s_and_b32 exec_lo, exec_lo, vcc_lo
	s_cbranch_execz .LBB1_241
; %bb.4:
	s_load_dwordx2 s[2:3], s[4:5], 0x58
	v_mbcnt_lo_u32_b32 v32, -1, 0
	v_mov_b32_e32 v9, 0
	v_mov_b32_e32 v10, 0
	v_readfirstlane_b32 s0, v32
	v_cmp_eq_u32_e64 s0, s0, v32
	s_and_saveexec_b32 s1, s0
	s_cbranch_execz .LBB1_10
; %bb.5:
	v_mov_b32_e32 v1, 0
	s_mov_b32 s4, exec_lo
	s_waitcnt lgkmcnt(0)
	global_load_dwordx2 v[5:6], v1, s[2:3] offset:24 glc dlc
	s_waitcnt vmcnt(0)
	buffer_gl1_inv
	buffer_gl0_inv
	s_clause 0x1
	global_load_dwordx2 v[3:4], v1, s[2:3] offset:40
	global_load_dwordx2 v[7:8], v1, s[2:3]
	s_waitcnt vmcnt(1)
	v_and_b32_e32 v4, v4, v6
	v_and_b32_e32 v3, v3, v5
	v_mul_lo_u32 v4, v4, 24
	v_mul_hi_u32 v9, v3, 24
	v_mul_lo_u32 v3, v3, 24
	v_add_nc_u32_e32 v4, v9, v4
	s_waitcnt vmcnt(0)
	v_add_co_u32 v3, vcc_lo, v7, v3
	v_add_co_ci_u32_e64 v4, null, v8, v4, vcc_lo
	global_load_dwordx2 v[3:4], v[3:4], off glc dlc
	s_waitcnt vmcnt(0)
	global_atomic_cmpswap_x2 v[9:10], v1, v[3:6], s[2:3] offset:24 glc
	s_waitcnt vmcnt(0)
	buffer_gl1_inv
	buffer_gl0_inv
	v_cmpx_ne_u64_e64 v[9:10], v[5:6]
	s_cbranch_execz .LBB1_9
; %bb.6:
	s_mov_b32 s5, 0
	.p2align	6
.LBB1_7:                                ; =>This Inner Loop Header: Depth=1
	s_sleep 1
	s_clause 0x1
	global_load_dwordx2 v[3:4], v1, s[2:3] offset:40
	global_load_dwordx2 v[7:8], v1, s[2:3]
	v_mov_b32_e32 v5, v9
	v_mov_b32_e32 v6, v10
	s_waitcnt vmcnt(1)
	v_and_b32_e32 v3, v3, v5
	v_and_b32_e32 v4, v4, v6
	s_waitcnt vmcnt(0)
	v_mad_u64_u32 v[7:8], null, v3, 24, v[7:8]
	v_mov_b32_e32 v3, v8
	v_mad_u64_u32 v[3:4], null, v4, 24, v[3:4]
	v_mov_b32_e32 v8, v3
	global_load_dwordx2 v[3:4], v[7:8], off glc dlc
	s_waitcnt vmcnt(0)
	global_atomic_cmpswap_x2 v[9:10], v1, v[3:6], s[2:3] offset:24 glc
	s_waitcnt vmcnt(0)
	buffer_gl1_inv
	buffer_gl0_inv
	v_cmp_eq_u64_e32 vcc_lo, v[9:10], v[5:6]
	s_or_b32 s5, vcc_lo, s5
	s_andn2_b32 exec_lo, exec_lo, s5
	s_cbranch_execnz .LBB1_7
; %bb.8:
	s_or_b32 exec_lo, exec_lo, s5
.LBB1_9:
	s_or_b32 exec_lo, exec_lo, s4
.LBB1_10:
	s_or_b32 exec_lo, exec_lo, s1
	v_mov_b32_e32 v8, 0
	v_readfirstlane_b32 s5, v10
	v_readfirstlane_b32 s4, v9
	s_mov_b32 s1, exec_lo
	s_waitcnt lgkmcnt(0)
	s_clause 0x1
	global_load_dwordx2 v[11:12], v8, s[2:3] offset:40
	global_load_dwordx4 v[3:6], v8, s[2:3]
	s_waitcnt vmcnt(1)
	v_readfirstlane_b32 s8, v11
	v_readfirstlane_b32 s9, v12
	s_and_b64 s[8:9], s[8:9], s[4:5]
	s_mul_i32 s10, s9, 24
	s_mul_hi_u32 s11, s8, 24
	s_mul_i32 s12, s8, 24
	s_add_i32 s11, s11, s10
	s_waitcnt vmcnt(0)
	v_add_co_u32 v11, vcc_lo, v3, s12
	v_add_co_ci_u32_e64 v12, null, s11, v4, vcc_lo
	s_and_saveexec_b32 s10, s0
	s_cbranch_execz .LBB1_12
; %bb.11:
	v_mov_b32_e32 v7, s1
	v_mov_b32_e32 v9, 2
	;; [unrolled: 1-line block ×3, first 2 shown]
	global_store_dwordx4 v[11:12], v[7:10], off offset:8
.LBB1_12:
	s_or_b32 exec_lo, exec_lo, s10
	s_lshl_b64 s[8:9], s[8:9], 12
	v_lshlrev_b32_e32 v31, 6, v32
	v_add_co_u32 v1, vcc_lo, v5, s8
	v_add_co_ci_u32_e64 v5, null, s9, v6, vcc_lo
	s_mov_b32 s8, 0
	v_add_co_u32 v13, vcc_lo, v1, v31
	s_mov_b32 s11, s8
	s_mov_b32 s9, s8
	;; [unrolled: 1-line block ×3, first 2 shown]
	v_mov_b32_e32 v7, 33
	v_mov_b32_e32 v9, v8
	;; [unrolled: 1-line block ×3, first 2 shown]
	v_readfirstlane_b32 s12, v1
	v_readfirstlane_b32 s13, v5
	v_mov_b32_e32 v18, s11
	v_add_co_ci_u32_e64 v14, null, 0, v5, vcc_lo
	v_mov_b32_e32 v17, s10
	v_mov_b32_e32 v16, s9
	;; [unrolled: 1-line block ×3, first 2 shown]
	global_store_dwordx4 v31, v[7:10], s[12:13]
	global_store_dwordx4 v31, v[15:18], s[12:13] offset:16
	global_store_dwordx4 v31, v[15:18], s[12:13] offset:32
	;; [unrolled: 1-line block ×3, first 2 shown]
	s_and_saveexec_b32 s1, s0
	s_cbranch_execz .LBB1_20
; %bb.13:
	v_mov_b32_e32 v1, 0
	v_mov_b32_e32 v15, s4
	v_mov_b32_e32 v16, s5
	s_mov_b32 s8, exec_lo
	s_clause 0x1
	global_load_dwordx2 v[17:18], v1, s[2:3] offset:32 glc dlc
	global_load_dwordx2 v[5:6], v1, s[2:3] offset:40
	s_waitcnt vmcnt(0)
	v_and_b32_e32 v6, s5, v6
	v_and_b32_e32 v5, s4, v5
	v_mul_lo_u32 v6, v6, 24
	v_mul_hi_u32 v7, v5, 24
	v_mul_lo_u32 v5, v5, 24
	v_add_nc_u32_e32 v6, v7, v6
	v_add_co_u32 v7, vcc_lo, v3, v5
	v_add_co_ci_u32_e64 v8, null, v4, v6, vcc_lo
	global_store_dwordx2 v[7:8], v[17:18], off
	s_waitcnt_vscnt null, 0x0
	global_atomic_cmpswap_x2 v[5:6], v1, v[15:18], s[2:3] offset:32 glc
	s_waitcnt vmcnt(0)
	v_cmpx_ne_u64_e64 v[5:6], v[17:18]
	s_cbranch_execz .LBB1_16
; %bb.14:
	s_mov_b32 s9, 0
.LBB1_15:                               ; =>This Inner Loop Header: Depth=1
	v_mov_b32_e32 v3, s4
	v_mov_b32_e32 v4, s5
	s_sleep 1
	global_store_dwordx2 v[7:8], v[5:6], off
	s_waitcnt_vscnt null, 0x0
	global_atomic_cmpswap_x2 v[3:4], v1, v[3:6], s[2:3] offset:32 glc
	s_waitcnt vmcnt(0)
	v_cmp_eq_u64_e32 vcc_lo, v[3:4], v[5:6]
	v_mov_b32_e32 v6, v4
	v_mov_b32_e32 v5, v3
	s_or_b32 s9, vcc_lo, s9
	s_andn2_b32 exec_lo, exec_lo, s9
	s_cbranch_execnz .LBB1_15
.LBB1_16:
	s_or_b32 exec_lo, exec_lo, s8
	v_mov_b32_e32 v6, 0
	s_mov_b32 s9, exec_lo
	s_mov_b32 s8, exec_lo
	v_mbcnt_lo_u32_b32 v1, s9, 0
	global_load_dwordx2 v[3:4], v6, s[2:3] offset:16
	v_cmpx_eq_u32_e32 0, v1
	s_cbranch_execz .LBB1_18
; %bb.17:
	s_bcnt1_i32_b32 s9, s9
	v_mov_b32_e32 v5, s9
	s_waitcnt vmcnt(0)
	global_atomic_add_x2 v[3:4], v[5:6], off offset:8
.LBB1_18:
	s_or_b32 exec_lo, exec_lo, s8
	s_waitcnt vmcnt(0)
	global_load_dwordx2 v[5:6], v[3:4], off offset:16
	s_waitcnt vmcnt(0)
	v_cmp_eq_u64_e32 vcc_lo, 0, v[5:6]
	s_cbranch_vccnz .LBB1_20
; %bb.19:
	global_load_dword v3, v[3:4], off offset:24
	v_mov_b32_e32 v4, 0
	s_waitcnt vmcnt(0)
	v_readfirstlane_b32 s8, v3
	s_waitcnt_vscnt null, 0x0
	global_store_dwordx2 v[5:6], v[3:4], off
	s_and_b32 m0, s8, 0x7fffff
	s_sendmsg sendmsg(MSG_INTERRUPT)
.LBB1_20:
	s_or_b32 exec_lo, exec_lo, s1
	s_branch .LBB1_24
	.p2align	6
.LBB1_21:                               ;   in Loop: Header=BB1_24 Depth=1
	s_or_b32 exec_lo, exec_lo, s1
	v_readfirstlane_b32 s1, v1
	s_cmp_eq_u32 s1, 0
	s_cbranch_scc1 .LBB1_23
; %bb.22:                               ;   in Loop: Header=BB1_24 Depth=1
	s_sleep 1
	s_cbranch_execnz .LBB1_24
	s_branch .LBB1_26
	.p2align	6
.LBB1_23:
	s_branch .LBB1_26
.LBB1_24:                               ; =>This Inner Loop Header: Depth=1
	v_mov_b32_e32 v1, 1
	s_and_saveexec_b32 s1, s0
	s_cbranch_execz .LBB1_21
; %bb.25:                               ;   in Loop: Header=BB1_24 Depth=1
	global_load_dword v1, v[11:12], off offset:20 glc dlc
	s_waitcnt vmcnt(0)
	buffer_gl1_inv
	buffer_gl0_inv
	v_and_b32_e32 v1, 1, v1
	s_branch .LBB1_21
.LBB1_26:
	global_load_dwordx2 v[3:4], v[13:14], off
	s_and_saveexec_b32 s8, s0
	s_cbranch_execz .LBB1_30
; %bb.27:
	v_mov_b32_e32 v1, 0
	s_clause 0x2
	global_load_dwordx2 v[5:6], v1, s[2:3] offset:40
	global_load_dwordx2 v[13:14], v1, s[2:3] offset:24 glc dlc
	global_load_dwordx2 v[7:8], v1, s[2:3]
	s_waitcnt vmcnt(2)
	v_readfirstlane_b32 s10, v5
	v_readfirstlane_b32 s11, v6
	s_add_u32 s9, s10, 1
	s_addc_u32 s12, s11, 0
	s_add_u32 s0, s9, s4
	s_addc_u32 s1, s12, s5
	s_cmp_eq_u64 s[0:1], 0
	s_cselect_b32 s1, s12, s1
	s_cselect_b32 s0, s9, s0
	v_mov_b32_e32 v12, s1
	s_and_b64 s[4:5], s[0:1], s[10:11]
	v_mov_b32_e32 v11, s0
	s_mul_i32 s5, s5, 24
	s_mul_hi_u32 s9, s4, 24
	s_mul_i32 s4, s4, 24
	s_add_i32 s9, s9, s5
	s_waitcnt vmcnt(0)
	v_add_co_u32 v9, vcc_lo, v7, s4
	v_add_co_ci_u32_e64 v10, null, s9, v8, vcc_lo
	global_store_dwordx2 v[9:10], v[13:14], off
	s_waitcnt_vscnt null, 0x0
	global_atomic_cmpswap_x2 v[7:8], v1, v[11:14], s[2:3] offset:24 glc
	s_waitcnt vmcnt(0)
	v_cmp_ne_u64_e32 vcc_lo, v[7:8], v[13:14]
	s_and_b32 exec_lo, exec_lo, vcc_lo
	s_cbranch_execz .LBB1_30
; %bb.28:
	s_mov_b32 s4, 0
.LBB1_29:                               ; =>This Inner Loop Header: Depth=1
	v_mov_b32_e32 v5, s0
	v_mov_b32_e32 v6, s1
	s_sleep 1
	global_store_dwordx2 v[9:10], v[7:8], off
	s_waitcnt_vscnt null, 0x0
	global_atomic_cmpswap_x2 v[5:6], v1, v[5:8], s[2:3] offset:24 glc
	s_waitcnt vmcnt(0)
	v_cmp_eq_u64_e32 vcc_lo, v[5:6], v[7:8]
	v_mov_b32_e32 v8, v6
	v_mov_b32_e32 v7, v5
	s_or_b32 s4, vcc_lo, s4
	s_andn2_b32 exec_lo, exec_lo, s4
	s_cbranch_execnz .LBB1_29
.LBB1_30:
	s_or_b32 exec_lo, exec_lo, s8
	s_getpc_b64 s[4:5]
	s_add_u32 s4, s4, .str.1@rel32@lo+4
	s_addc_u32 s5, s5, .str.1@rel32@hi+12
	s_cmp_lg_u64 s[4:5], 0
	s_cbranch_scc0 .LBB1_109
; %bb.31:
	s_waitcnt vmcnt(0)
	v_and_b32_e32 v1, 2, v3
	v_mov_b32_e32 v10, 0
	v_and_b32_e32 v5, -3, v3
	v_mov_b32_e32 v6, v4
	v_mov_b32_e32 v11, 2
	;; [unrolled: 1-line block ×3, first 2 shown]
	s_mov_b64 s[8:9], 0x42
	s_branch .LBB1_33
.LBB1_32:                               ;   in Loop: Header=BB1_33 Depth=1
	s_or_b32 exec_lo, exec_lo, s14
	s_sub_u32 s8, s8, s10
	s_subb_u32 s9, s9, s11
	s_add_u32 s4, s4, s10
	s_addc_u32 s5, s5, s11
	s_cmp_lg_u64 s[8:9], 0
	s_cbranch_scc0 .LBB1_108
.LBB1_33:                               ; =>This Loop Header: Depth=1
                                        ;     Child Loop BB1_36 Depth 2
                                        ;     Child Loop BB1_43 Depth 2
	;; [unrolled: 1-line block ×11, first 2 shown]
	v_cmp_lt_u64_e64 s0, s[8:9], 56
	v_cmp_gt_u64_e64 s12, s[8:9], 7
	s_and_b32 s0, s0, exec_lo
	s_cselect_b32 s11, s9, 0
	s_cselect_b32 s10, s8, 56
	s_add_u32 s0, s4, 8
	s_addc_u32 s1, s5, 0
	s_and_b32 vcc_lo, exec_lo, s12
	s_cbranch_vccnz .LBB1_38
; %bb.34:                               ;   in Loop: Header=BB1_33 Depth=1
	v_mov_b32_e32 v7, 0
	v_mov_b32_e32 v8, 0
	s_cmp_eq_u64 s[8:9], 0
	s_cbranch_scc1 .LBB1_37
; %bb.35:                               ;   in Loop: Header=BB1_33 Depth=1
	s_lshl_b64 s[0:1], s[10:11], 3
	s_mov_b64 s[12:13], 0
	s_mov_b64 s[14:15], s[4:5]
.LBB1_36:                               ;   Parent Loop BB1_33 Depth=1
                                        ; =>  This Inner Loop Header: Depth=2
	global_load_ubyte v9, v10, s[14:15]
	s_waitcnt vmcnt(0)
	v_and_b32_e32 v9, 0xffff, v9
	v_lshlrev_b64 v[13:14], s12, v[9:10]
	s_add_u32 s12, s12, 8
	s_addc_u32 s13, s13, 0
	s_add_u32 s14, s14, 1
	s_addc_u32 s15, s15, 0
	s_cmp_lg_u32 s0, s12
	v_or_b32_e32 v7, v13, v7
	v_or_b32_e32 v8, v14, v8
	s_cbranch_scc1 .LBB1_36
.LBB1_37:                               ;   in Loop: Header=BB1_33 Depth=1
	s_mov_b64 s[0:1], s[4:5]
	s_mov_b32 s16, 0
	s_cbranch_execz .LBB1_39
	s_branch .LBB1_40
.LBB1_38:                               ;   in Loop: Header=BB1_33 Depth=1
	s_mov_b32 s16, 0
.LBB1_39:                               ;   in Loop: Header=BB1_33 Depth=1
	global_load_dwordx2 v[7:8], v10, s[4:5]
	s_add_i32 s16, s10, -8
.LBB1_40:                               ;   in Loop: Header=BB1_33 Depth=1
	s_add_u32 s12, s0, 8
	s_addc_u32 s13, s1, 0
	s_cmp_gt_u32 s16, 7
	s_cbranch_scc1 .LBB1_45
; %bb.41:                               ;   in Loop: Header=BB1_33 Depth=1
	v_mov_b32_e32 v13, 0
	v_mov_b32_e32 v14, 0
	s_cmp_eq_u32 s16, 0
	s_cbranch_scc1 .LBB1_44
; %bb.42:                               ;   in Loop: Header=BB1_33 Depth=1
	s_mov_b64 s[12:13], 0
	s_mov_b64 s[14:15], 0
.LBB1_43:                               ;   Parent Loop BB1_33 Depth=1
                                        ; =>  This Inner Loop Header: Depth=2
	s_add_u32 s18, s0, s14
	s_addc_u32 s19, s1, s15
	s_add_u32 s14, s14, 1
	global_load_ubyte v9, v10, s[18:19]
	s_addc_u32 s15, s15, 0
	s_waitcnt vmcnt(0)
	v_and_b32_e32 v9, 0xffff, v9
	v_lshlrev_b64 v[15:16], s12, v[9:10]
	s_add_u32 s12, s12, 8
	s_addc_u32 s13, s13, 0
	s_cmp_lg_u32 s16, s14
	v_or_b32_e32 v13, v15, v13
	v_or_b32_e32 v14, v16, v14
	s_cbranch_scc1 .LBB1_43
.LBB1_44:                               ;   in Loop: Header=BB1_33 Depth=1
	s_mov_b64 s[12:13], s[0:1]
	s_mov_b32 s17, 0
	s_cbranch_execz .LBB1_46
	s_branch .LBB1_47
.LBB1_45:                               ;   in Loop: Header=BB1_33 Depth=1
                                        ; implicit-def: $vgpr13_vgpr14
	s_mov_b32 s17, 0
.LBB1_46:                               ;   in Loop: Header=BB1_33 Depth=1
	global_load_dwordx2 v[13:14], v10, s[0:1]
	s_add_i32 s17, s16, -8
.LBB1_47:                               ;   in Loop: Header=BB1_33 Depth=1
	s_add_u32 s0, s12, 8
	s_addc_u32 s1, s13, 0
	s_cmp_gt_u32 s17, 7
	s_cbranch_scc1 .LBB1_52
; %bb.48:                               ;   in Loop: Header=BB1_33 Depth=1
	v_mov_b32_e32 v15, 0
	v_mov_b32_e32 v16, 0
	s_cmp_eq_u32 s17, 0
	s_cbranch_scc1 .LBB1_51
; %bb.49:                               ;   in Loop: Header=BB1_33 Depth=1
	s_mov_b64 s[0:1], 0
	s_mov_b64 s[14:15], 0
.LBB1_50:                               ;   Parent Loop BB1_33 Depth=1
                                        ; =>  This Inner Loop Header: Depth=2
	s_add_u32 s18, s12, s14
	s_addc_u32 s19, s13, s15
	s_add_u32 s14, s14, 1
	global_load_ubyte v9, v10, s[18:19]
	s_addc_u32 s15, s15, 0
	s_waitcnt vmcnt(0)
	v_and_b32_e32 v9, 0xffff, v9
	v_lshlrev_b64 v[17:18], s0, v[9:10]
	s_add_u32 s0, s0, 8
	s_addc_u32 s1, s1, 0
	s_cmp_lg_u32 s17, s14
	v_or_b32_e32 v15, v17, v15
	v_or_b32_e32 v16, v18, v16
	s_cbranch_scc1 .LBB1_50
.LBB1_51:                               ;   in Loop: Header=BB1_33 Depth=1
	s_mov_b64 s[0:1], s[12:13]
	s_mov_b32 s16, 0
	s_cbranch_execz .LBB1_53
	s_branch .LBB1_54
.LBB1_52:                               ;   in Loop: Header=BB1_33 Depth=1
	s_mov_b32 s16, 0
.LBB1_53:                               ;   in Loop: Header=BB1_33 Depth=1
	global_load_dwordx2 v[15:16], v10, s[12:13]
	s_add_i32 s16, s17, -8
.LBB1_54:                               ;   in Loop: Header=BB1_33 Depth=1
	s_add_u32 s12, s0, 8
	s_addc_u32 s13, s1, 0
	s_cmp_gt_u32 s16, 7
	s_cbranch_scc1 .LBB1_59
; %bb.55:                               ;   in Loop: Header=BB1_33 Depth=1
	v_mov_b32_e32 v17, 0
	v_mov_b32_e32 v18, 0
	s_cmp_eq_u32 s16, 0
	s_cbranch_scc1 .LBB1_58
; %bb.56:                               ;   in Loop: Header=BB1_33 Depth=1
	s_mov_b64 s[12:13], 0
	s_mov_b64 s[14:15], 0
.LBB1_57:                               ;   Parent Loop BB1_33 Depth=1
                                        ; =>  This Inner Loop Header: Depth=2
	s_add_u32 s18, s0, s14
	s_addc_u32 s19, s1, s15
	s_add_u32 s14, s14, 1
	global_load_ubyte v9, v10, s[18:19]
	s_addc_u32 s15, s15, 0
	s_waitcnt vmcnt(0)
	v_and_b32_e32 v9, 0xffff, v9
	v_lshlrev_b64 v[19:20], s12, v[9:10]
	s_add_u32 s12, s12, 8
	s_addc_u32 s13, s13, 0
	s_cmp_lg_u32 s16, s14
	v_or_b32_e32 v17, v19, v17
	v_or_b32_e32 v18, v20, v18
	s_cbranch_scc1 .LBB1_57
.LBB1_58:                               ;   in Loop: Header=BB1_33 Depth=1
	s_mov_b64 s[12:13], s[0:1]
	s_mov_b32 s17, 0
	s_cbranch_execz .LBB1_60
	s_branch .LBB1_61
.LBB1_59:                               ;   in Loop: Header=BB1_33 Depth=1
                                        ; implicit-def: $vgpr17_vgpr18
	s_mov_b32 s17, 0
.LBB1_60:                               ;   in Loop: Header=BB1_33 Depth=1
	global_load_dwordx2 v[17:18], v10, s[0:1]
	s_add_i32 s17, s16, -8
.LBB1_61:                               ;   in Loop: Header=BB1_33 Depth=1
	s_add_u32 s0, s12, 8
	s_addc_u32 s1, s13, 0
	s_cmp_gt_u32 s17, 7
	s_cbranch_scc1 .LBB1_66
; %bb.62:                               ;   in Loop: Header=BB1_33 Depth=1
	v_mov_b32_e32 v19, 0
	v_mov_b32_e32 v20, 0
	s_cmp_eq_u32 s17, 0
	s_cbranch_scc1 .LBB1_65
; %bb.63:                               ;   in Loop: Header=BB1_33 Depth=1
	s_mov_b64 s[0:1], 0
	s_mov_b64 s[14:15], 0
.LBB1_64:                               ;   Parent Loop BB1_33 Depth=1
                                        ; =>  This Inner Loop Header: Depth=2
	s_add_u32 s18, s12, s14
	s_addc_u32 s19, s13, s15
	s_add_u32 s14, s14, 1
	global_load_ubyte v9, v10, s[18:19]
	s_addc_u32 s15, s15, 0
	s_waitcnt vmcnt(0)
	v_and_b32_e32 v9, 0xffff, v9
	v_lshlrev_b64 v[21:22], s0, v[9:10]
	s_add_u32 s0, s0, 8
	s_addc_u32 s1, s1, 0
	s_cmp_lg_u32 s17, s14
	v_or_b32_e32 v19, v21, v19
	v_or_b32_e32 v20, v22, v20
	s_cbranch_scc1 .LBB1_64
.LBB1_65:                               ;   in Loop: Header=BB1_33 Depth=1
	s_mov_b64 s[0:1], s[12:13]
	s_mov_b32 s16, 0
	s_cbranch_execz .LBB1_67
	s_branch .LBB1_68
.LBB1_66:                               ;   in Loop: Header=BB1_33 Depth=1
	s_mov_b32 s16, 0
.LBB1_67:                               ;   in Loop: Header=BB1_33 Depth=1
	global_load_dwordx2 v[19:20], v10, s[12:13]
	s_add_i32 s16, s17, -8
.LBB1_68:                               ;   in Loop: Header=BB1_33 Depth=1
	s_add_u32 s12, s0, 8
	s_addc_u32 s13, s1, 0
	s_cmp_gt_u32 s16, 7
	s_cbranch_scc1 .LBB1_73
; %bb.69:                               ;   in Loop: Header=BB1_33 Depth=1
	v_mov_b32_e32 v21, 0
	v_mov_b32_e32 v22, 0
	s_cmp_eq_u32 s16, 0
	s_cbranch_scc1 .LBB1_72
; %bb.70:                               ;   in Loop: Header=BB1_33 Depth=1
	s_mov_b64 s[12:13], 0
	s_mov_b64 s[14:15], 0
.LBB1_71:                               ;   Parent Loop BB1_33 Depth=1
                                        ; =>  This Inner Loop Header: Depth=2
	s_add_u32 s18, s0, s14
	s_addc_u32 s19, s1, s15
	s_add_u32 s14, s14, 1
	global_load_ubyte v9, v10, s[18:19]
	s_addc_u32 s15, s15, 0
	s_waitcnt vmcnt(0)
	v_and_b32_e32 v9, 0xffff, v9
	v_lshlrev_b64 v[23:24], s12, v[9:10]
	s_add_u32 s12, s12, 8
	s_addc_u32 s13, s13, 0
	s_cmp_lg_u32 s16, s14
	v_or_b32_e32 v21, v23, v21
	v_or_b32_e32 v22, v24, v22
	s_cbranch_scc1 .LBB1_71
.LBB1_72:                               ;   in Loop: Header=BB1_33 Depth=1
	s_mov_b64 s[12:13], s[0:1]
	s_mov_b32 s17, 0
	s_cbranch_execz .LBB1_74
	s_branch .LBB1_75
.LBB1_73:                               ;   in Loop: Header=BB1_33 Depth=1
                                        ; implicit-def: $vgpr21_vgpr22
	s_mov_b32 s17, 0
.LBB1_74:                               ;   in Loop: Header=BB1_33 Depth=1
	global_load_dwordx2 v[21:22], v10, s[0:1]
	s_add_i32 s17, s16, -8
.LBB1_75:                               ;   in Loop: Header=BB1_33 Depth=1
	s_cmp_gt_u32 s17, 7
	s_cbranch_scc1 .LBB1_80
; %bb.76:                               ;   in Loop: Header=BB1_33 Depth=1
	v_mov_b32_e32 v23, 0
	v_mov_b32_e32 v24, 0
	s_cmp_eq_u32 s17, 0
	s_cbranch_scc1 .LBB1_79
; %bb.77:                               ;   in Loop: Header=BB1_33 Depth=1
	s_mov_b64 s[0:1], 0
	s_mov_b64 s[14:15], s[12:13]
.LBB1_78:                               ;   Parent Loop BB1_33 Depth=1
                                        ; =>  This Inner Loop Header: Depth=2
	global_load_ubyte v9, v10, s[14:15]
	s_add_i32 s17, s17, -1
	s_waitcnt vmcnt(0)
	v_and_b32_e32 v9, 0xffff, v9
	v_lshlrev_b64 v[25:26], s0, v[9:10]
	s_add_u32 s0, s0, 8
	s_addc_u32 s1, s1, 0
	s_add_u32 s14, s14, 1
	s_addc_u32 s15, s15, 0
	s_cmp_lg_u32 s17, 0
	v_or_b32_e32 v23, v25, v23
	v_or_b32_e32 v24, v26, v24
	s_cbranch_scc1 .LBB1_78
.LBB1_79:                               ;   in Loop: Header=BB1_33 Depth=1
	s_cbranch_execz .LBB1_81
	s_branch .LBB1_82
.LBB1_80:                               ;   in Loop: Header=BB1_33 Depth=1
.LBB1_81:                               ;   in Loop: Header=BB1_33 Depth=1
	global_load_dwordx2 v[23:24], v10, s[12:13]
.LBB1_82:                               ;   in Loop: Header=BB1_33 Depth=1
	v_readfirstlane_b32 s0, v32
	v_mov_b32_e32 v29, 0
	v_mov_b32_e32 v30, 0
	v_cmp_eq_u32_e64 s0, s0, v32
	s_and_saveexec_b32 s1, s0
	s_cbranch_execz .LBB1_88
; %bb.83:                               ;   in Loop: Header=BB1_33 Depth=1
	global_load_dwordx2 v[27:28], v10, s[2:3] offset:24 glc dlc
	s_waitcnt vmcnt(0)
	buffer_gl1_inv
	buffer_gl0_inv
	s_clause 0x1
	global_load_dwordx2 v[25:26], v10, s[2:3] offset:40
	global_load_dwordx2 v[29:30], v10, s[2:3]
	s_mov_b32 s12, exec_lo
	s_waitcnt vmcnt(1)
	v_and_b32_e32 v9, v26, v28
	v_and_b32_e32 v25, v25, v27
	v_mul_lo_u32 v9, v9, 24
	v_mul_hi_u32 v26, v25, 24
	v_mul_lo_u32 v25, v25, 24
	v_add_nc_u32_e32 v9, v26, v9
	s_waitcnt vmcnt(0)
	v_add_co_u32 v25, vcc_lo, v29, v25
	v_add_co_ci_u32_e64 v26, null, v30, v9, vcc_lo
	global_load_dwordx2 v[25:26], v[25:26], off glc dlc
	s_waitcnt vmcnt(0)
	global_atomic_cmpswap_x2 v[29:30], v10, v[25:28], s[2:3] offset:24 glc
	s_waitcnt vmcnt(0)
	buffer_gl1_inv
	buffer_gl0_inv
	v_cmpx_ne_u64_e64 v[29:30], v[27:28]
	s_cbranch_execz .LBB1_87
; %bb.84:                               ;   in Loop: Header=BB1_33 Depth=1
	s_mov_b32 s13, 0
	.p2align	6
.LBB1_85:                               ;   Parent Loop BB1_33 Depth=1
                                        ; =>  This Inner Loop Header: Depth=2
	s_sleep 1
	s_clause 0x1
	global_load_dwordx2 v[25:26], v10, s[2:3] offset:40
	global_load_dwordx2 v[33:34], v10, s[2:3]
	v_mov_b32_e32 v27, v29
	v_mov_b32_e32 v28, v30
	s_waitcnt vmcnt(1)
	v_and_b32_e32 v9, v25, v27
	v_and_b32_e32 v25, v26, v28
	s_waitcnt vmcnt(0)
	v_mad_u64_u32 v[29:30], null, v9, 24, v[33:34]
	v_mov_b32_e32 v9, v30
	v_mad_u64_u32 v[25:26], null, v25, 24, v[9:10]
	v_mov_b32_e32 v30, v25
	global_load_dwordx2 v[25:26], v[29:30], off glc dlc
	s_waitcnt vmcnt(0)
	global_atomic_cmpswap_x2 v[29:30], v10, v[25:28], s[2:3] offset:24 glc
	s_waitcnt vmcnt(0)
	buffer_gl1_inv
	buffer_gl0_inv
	v_cmp_eq_u64_e32 vcc_lo, v[29:30], v[27:28]
	s_or_b32 s13, vcc_lo, s13
	s_andn2_b32 exec_lo, exec_lo, s13
	s_cbranch_execnz .LBB1_85
; %bb.86:                               ;   in Loop: Header=BB1_33 Depth=1
	s_or_b32 exec_lo, exec_lo, s13
.LBB1_87:                               ;   in Loop: Header=BB1_33 Depth=1
	s_or_b32 exec_lo, exec_lo, s12
.LBB1_88:                               ;   in Loop: Header=BB1_33 Depth=1
	s_or_b32 exec_lo, exec_lo, s1
	s_clause 0x1
	global_load_dwordx2 v[33:34], v10, s[2:3] offset:40
	global_load_dwordx4 v[25:28], v10, s[2:3]
	v_readfirstlane_b32 s13, v30
	v_readfirstlane_b32 s12, v29
	s_mov_b32 s1, exec_lo
	s_waitcnt vmcnt(1)
	v_readfirstlane_b32 s14, v33
	v_readfirstlane_b32 s15, v34
	s_and_b64 s[14:15], s[14:15], s[12:13]
	s_mul_i32 s16, s15, 24
	s_mul_hi_u32 s17, s14, 24
	s_mul_i32 s18, s14, 24
	s_add_i32 s17, s17, s16
	s_waitcnt vmcnt(0)
	v_add_co_u32 v29, vcc_lo, v25, s18
	v_add_co_ci_u32_e64 v30, null, s17, v26, vcc_lo
	s_and_saveexec_b32 s16, s0
	s_cbranch_execz .LBB1_90
; %bb.89:                               ;   in Loop: Header=BB1_33 Depth=1
	v_mov_b32_e32 v9, s1
	global_store_dwordx4 v[29:30], v[9:12], off offset:8
.LBB1_90:                               ;   in Loop: Header=BB1_33 Depth=1
	s_or_b32 exec_lo, exec_lo, s16
	v_cmp_lt_u64_e64 vcc_lo, s[8:9], 57
	s_lshl_b64 s[14:15], s[14:15], 12
	v_and_b32_e32 v5, 0xffffff1f, v5
	s_lshl_b32 s1, s10, 2
	s_add_i32 s1, s1, 28
	v_cndmask_b32_e32 v9, 0, v1, vcc_lo
	v_add_co_u32 v27, vcc_lo, v27, s14
	v_add_co_ci_u32_e64 v28, null, s15, v28, vcc_lo
	v_or_b32_e32 v5, v5, v9
	v_readfirstlane_b32 s14, v27
	v_readfirstlane_b32 s15, v28
	v_and_or_b32 v5, 0x1e0, s1, v5
	global_store_dwordx4 v31, v[13:16], s[14:15] offset:16
	global_store_dwordx4 v31, v[5:8], s[14:15]
	global_store_dwordx4 v31, v[17:20], s[14:15] offset:32
	global_store_dwordx4 v31, v[21:24], s[14:15] offset:48
	s_and_saveexec_b32 s1, s0
	s_cbranch_execz .LBB1_98
; %bb.91:                               ;   in Loop: Header=BB1_33 Depth=1
	s_clause 0x1
	global_load_dwordx2 v[17:18], v10, s[2:3] offset:32 glc dlc
	global_load_dwordx2 v[5:6], v10, s[2:3] offset:40
	v_mov_b32_e32 v15, s12
	v_mov_b32_e32 v16, s13
	s_waitcnt vmcnt(0)
	v_readfirstlane_b32 s14, v5
	v_readfirstlane_b32 s15, v6
	s_and_b64 s[14:15], s[14:15], s[12:13]
	s_mul_i32 s15, s15, 24
	s_mul_hi_u32 s16, s14, 24
	s_mul_i32 s14, s14, 24
	s_add_i32 s16, s16, s15
	v_add_co_u32 v13, vcc_lo, v25, s14
	v_add_co_ci_u32_e64 v14, null, s16, v26, vcc_lo
	s_mov_b32 s14, exec_lo
	global_store_dwordx2 v[13:14], v[17:18], off
	s_waitcnt_vscnt null, 0x0
	global_atomic_cmpswap_x2 v[7:8], v10, v[15:18], s[2:3] offset:32 glc
	s_waitcnt vmcnt(0)
	v_cmpx_ne_u64_e64 v[7:8], v[17:18]
	s_cbranch_execz .LBB1_94
; %bb.92:                               ;   in Loop: Header=BB1_33 Depth=1
	s_mov_b32 s15, 0
.LBB1_93:                               ;   Parent Loop BB1_33 Depth=1
                                        ; =>  This Inner Loop Header: Depth=2
	v_mov_b32_e32 v5, s12
	v_mov_b32_e32 v6, s13
	s_sleep 1
	global_store_dwordx2 v[13:14], v[7:8], off
	s_waitcnt_vscnt null, 0x0
	global_atomic_cmpswap_x2 v[5:6], v10, v[5:8], s[2:3] offset:32 glc
	s_waitcnt vmcnt(0)
	v_cmp_eq_u64_e32 vcc_lo, v[5:6], v[7:8]
	v_mov_b32_e32 v8, v6
	v_mov_b32_e32 v7, v5
	s_or_b32 s15, vcc_lo, s15
	s_andn2_b32 exec_lo, exec_lo, s15
	s_cbranch_execnz .LBB1_93
.LBB1_94:                               ;   in Loop: Header=BB1_33 Depth=1
	s_or_b32 exec_lo, exec_lo, s14
	global_load_dwordx2 v[5:6], v10, s[2:3] offset:16
	s_mov_b32 s15, exec_lo
	s_mov_b32 s14, exec_lo
	v_mbcnt_lo_u32_b32 v7, s15, 0
	v_cmpx_eq_u32_e32 0, v7
	s_cbranch_execz .LBB1_96
; %bb.95:                               ;   in Loop: Header=BB1_33 Depth=1
	s_bcnt1_i32_b32 s15, s15
	v_mov_b32_e32 v9, s15
	s_waitcnt vmcnt(0)
	global_atomic_add_x2 v[5:6], v[9:10], off offset:8
.LBB1_96:                               ;   in Loop: Header=BB1_33 Depth=1
	s_or_b32 exec_lo, exec_lo, s14
	s_waitcnt vmcnt(0)
	global_load_dwordx2 v[7:8], v[5:6], off offset:16
	s_waitcnt vmcnt(0)
	v_cmp_eq_u64_e32 vcc_lo, 0, v[7:8]
	s_cbranch_vccnz .LBB1_98
; %bb.97:                               ;   in Loop: Header=BB1_33 Depth=1
	global_load_dword v9, v[5:6], off offset:24
	s_waitcnt vmcnt(0)
	v_readfirstlane_b32 s14, v9
	s_waitcnt_vscnt null, 0x0
	global_store_dwordx2 v[7:8], v[9:10], off
	s_and_b32 m0, s14, 0x7fffff
	s_sendmsg sendmsg(MSG_INTERRUPT)
.LBB1_98:                               ;   in Loop: Header=BB1_33 Depth=1
	s_or_b32 exec_lo, exec_lo, s1
	v_add_co_u32 v5, vcc_lo, v27, v31
	v_add_co_ci_u32_e64 v6, null, 0, v28, vcc_lo
	s_branch .LBB1_102
	.p2align	6
.LBB1_99:                               ;   in Loop: Header=BB1_102 Depth=2
	s_or_b32 exec_lo, exec_lo, s1
	v_readfirstlane_b32 s1, v7
	s_cmp_eq_u32 s1, 0
	s_cbranch_scc1 .LBB1_101
; %bb.100:                              ;   in Loop: Header=BB1_102 Depth=2
	s_sleep 1
	s_cbranch_execnz .LBB1_102
	s_branch .LBB1_104
	.p2align	6
.LBB1_101:                              ;   in Loop: Header=BB1_33 Depth=1
	s_branch .LBB1_104
.LBB1_102:                              ;   Parent Loop BB1_33 Depth=1
                                        ; =>  This Inner Loop Header: Depth=2
	v_mov_b32_e32 v7, 1
	s_and_saveexec_b32 s1, s0
	s_cbranch_execz .LBB1_99
; %bb.103:                              ;   in Loop: Header=BB1_102 Depth=2
	global_load_dword v7, v[29:30], off offset:20 glc dlc
	s_waitcnt vmcnt(0)
	buffer_gl1_inv
	buffer_gl0_inv
	v_and_b32_e32 v7, 1, v7
	s_branch .LBB1_99
.LBB1_104:                              ;   in Loop: Header=BB1_33 Depth=1
	global_load_dwordx2 v[5:6], v[5:6], off
	s_and_saveexec_b32 s14, s0
	s_cbranch_execz .LBB1_32
; %bb.105:                              ;   in Loop: Header=BB1_33 Depth=1
	s_clause 0x2
	global_load_dwordx2 v[7:8], v10, s[2:3] offset:40
	global_load_dwordx2 v[17:18], v10, s[2:3] offset:24 glc dlc
	global_load_dwordx2 v[13:14], v10, s[2:3]
	s_waitcnt vmcnt(2)
	v_readfirstlane_b32 s16, v7
	v_readfirstlane_b32 s17, v8
	s_add_u32 s15, s16, 1
	s_addc_u32 s18, s17, 0
	s_add_u32 s0, s15, s12
	s_addc_u32 s1, s18, s13
	s_cmp_eq_u64 s[0:1], 0
	s_cselect_b32 s1, s18, s1
	s_cselect_b32 s0, s15, s0
	v_mov_b32_e32 v16, s1
	s_and_b64 s[12:13], s[0:1], s[16:17]
	v_mov_b32_e32 v15, s0
	s_mul_i32 s13, s13, 24
	s_mul_hi_u32 s15, s12, 24
	s_mul_i32 s12, s12, 24
	s_add_i32 s15, s15, s13
	s_waitcnt vmcnt(0)
	v_add_co_u32 v7, vcc_lo, v13, s12
	v_add_co_ci_u32_e64 v8, null, s15, v14, vcc_lo
	global_store_dwordx2 v[7:8], v[17:18], off
	s_waitcnt_vscnt null, 0x0
	global_atomic_cmpswap_x2 v[15:16], v10, v[15:18], s[2:3] offset:24 glc
	s_waitcnt vmcnt(0)
	v_cmp_ne_u64_e32 vcc_lo, v[15:16], v[17:18]
	s_and_b32 exec_lo, exec_lo, vcc_lo
	s_cbranch_execz .LBB1_32
; %bb.106:                              ;   in Loop: Header=BB1_33 Depth=1
	s_mov_b32 s12, 0
.LBB1_107:                              ;   Parent Loop BB1_33 Depth=1
                                        ; =>  This Inner Loop Header: Depth=2
	v_mov_b32_e32 v13, s0
	v_mov_b32_e32 v14, s1
	s_sleep 1
	global_store_dwordx2 v[7:8], v[15:16], off
	s_waitcnt_vscnt null, 0x0
	global_atomic_cmpswap_x2 v[13:14], v10, v[13:16], s[2:3] offset:24 glc
	s_waitcnt vmcnt(0)
	v_cmp_eq_u64_e32 vcc_lo, v[13:14], v[15:16]
	v_mov_b32_e32 v16, v14
	v_mov_b32_e32 v15, v13
	s_or_b32 s12, vcc_lo, s12
	s_andn2_b32 exec_lo, exec_lo, s12
	s_cbranch_execnz .LBB1_107
	s_branch .LBB1_32
.LBB1_108:
	s_branch .LBB1_137
.LBB1_109:
                                        ; implicit-def: $vgpr5_vgpr6
	s_cbranch_execz .LBB1_137
; %bb.110:
	v_readfirstlane_b32 s0, v32
	v_mov_b32_e32 v11, 0
	v_mov_b32_e32 v12, 0
	v_cmp_eq_u32_e64 s0, s0, v32
	s_and_saveexec_b32 s1, s0
	s_cbranch_execz .LBB1_116
; %bb.111:
	v_mov_b32_e32 v1, 0
	s_mov_b32 s4, exec_lo
	global_load_dwordx2 v[7:8], v1, s[2:3] offset:24 glc dlc
	s_waitcnt vmcnt(0)
	buffer_gl1_inv
	buffer_gl0_inv
	s_clause 0x1
	global_load_dwordx2 v[5:6], v1, s[2:3] offset:40
	global_load_dwordx2 v[9:10], v1, s[2:3]
	s_waitcnt vmcnt(1)
	v_and_b32_e32 v6, v6, v8
	v_and_b32_e32 v5, v5, v7
	v_mul_lo_u32 v6, v6, 24
	v_mul_hi_u32 v11, v5, 24
	v_mul_lo_u32 v5, v5, 24
	v_add_nc_u32_e32 v6, v11, v6
	s_waitcnt vmcnt(0)
	v_add_co_u32 v5, vcc_lo, v9, v5
	v_add_co_ci_u32_e64 v6, null, v10, v6, vcc_lo
	global_load_dwordx2 v[5:6], v[5:6], off glc dlc
	s_waitcnt vmcnt(0)
	global_atomic_cmpswap_x2 v[11:12], v1, v[5:8], s[2:3] offset:24 glc
	s_waitcnt vmcnt(0)
	buffer_gl1_inv
	buffer_gl0_inv
	v_cmpx_ne_u64_e64 v[11:12], v[7:8]
	s_cbranch_execz .LBB1_115
; %bb.112:
	s_mov_b32 s5, 0
	.p2align	6
.LBB1_113:                              ; =>This Inner Loop Header: Depth=1
	s_sleep 1
	s_clause 0x1
	global_load_dwordx2 v[5:6], v1, s[2:3] offset:40
	global_load_dwordx2 v[9:10], v1, s[2:3]
	v_mov_b32_e32 v7, v11
	v_mov_b32_e32 v8, v12
	s_waitcnt vmcnt(1)
	v_and_b32_e32 v5, v5, v7
	v_and_b32_e32 v6, v6, v8
	s_waitcnt vmcnt(0)
	v_mad_u64_u32 v[9:10], null, v5, 24, v[9:10]
	v_mov_b32_e32 v5, v10
	v_mad_u64_u32 v[5:6], null, v6, 24, v[5:6]
	v_mov_b32_e32 v10, v5
	global_load_dwordx2 v[5:6], v[9:10], off glc dlc
	s_waitcnt vmcnt(0)
	global_atomic_cmpswap_x2 v[11:12], v1, v[5:8], s[2:3] offset:24 glc
	s_waitcnt vmcnt(0)
	buffer_gl1_inv
	buffer_gl0_inv
	v_cmp_eq_u64_e32 vcc_lo, v[11:12], v[7:8]
	s_or_b32 s5, vcc_lo, s5
	s_andn2_b32 exec_lo, exec_lo, s5
	s_cbranch_execnz .LBB1_113
; %bb.114:
	s_or_b32 exec_lo, exec_lo, s5
.LBB1_115:
	s_or_b32 exec_lo, exec_lo, s4
.LBB1_116:
	s_or_b32 exec_lo, exec_lo, s1
	s_waitcnt vmcnt(0)
	v_mov_b32_e32 v5, 0
	v_readfirstlane_b32 s5, v12
	v_readfirstlane_b32 s4, v11
	s_mov_b32 s1, exec_lo
	s_clause 0x1
	global_load_dwordx2 v[13:14], v5, s[2:3] offset:40
	global_load_dwordx4 v[7:10], v5, s[2:3]
	s_waitcnt vmcnt(1)
	v_readfirstlane_b32 s8, v13
	v_readfirstlane_b32 s9, v14
	s_and_b64 s[8:9], s[8:9], s[4:5]
	s_mul_i32 s10, s9, 24
	s_mul_hi_u32 s11, s8, 24
	s_mul_i32 s12, s8, 24
	s_add_i32 s11, s11, s10
	s_waitcnt vmcnt(0)
	v_add_co_u32 v11, vcc_lo, v7, s12
	v_add_co_ci_u32_e64 v12, null, s11, v8, vcc_lo
	s_and_saveexec_b32 s10, s0
	s_cbranch_execz .LBB1_118
; %bb.117:
	v_mov_b32_e32 v13, s1
	v_mov_b32_e32 v14, v5
	;; [unrolled: 1-line block ×4, first 2 shown]
	global_store_dwordx4 v[11:12], v[13:16], off offset:8
.LBB1_118:
	s_or_b32 exec_lo, exec_lo, s10
	s_lshl_b64 s[8:9], s[8:9], 12
	v_and_or_b32 v3, 0xffffff1f, v3, 32
	v_add_co_u32 v1, vcc_lo, v9, s8
	v_add_co_ci_u32_e64 v10, null, s9, v10, vcc_lo
	s_mov_b32 s8, 0
	v_add_co_u32 v9, vcc_lo, v1, v31
	s_mov_b32 s11, s8
	s_mov_b32 s9, s8
	;; [unrolled: 1-line block ×3, first 2 shown]
	v_mov_b32_e32 v6, v5
	v_readfirstlane_b32 s12, v1
	v_readfirstlane_b32 s13, v10
	v_mov_b32_e32 v16, s11
	v_add_co_ci_u32_e64 v10, null, 0, v10, vcc_lo
	v_mov_b32_e32 v15, s10
	v_mov_b32_e32 v14, s9
	;; [unrolled: 1-line block ×3, first 2 shown]
	global_store_dwordx4 v31, v[3:6], s[12:13]
	global_store_dwordx4 v31, v[13:16], s[12:13] offset:16
	global_store_dwordx4 v31, v[13:16], s[12:13] offset:32
	;; [unrolled: 1-line block ×3, first 2 shown]
	s_and_saveexec_b32 s1, s0
	s_cbranch_execz .LBB1_126
; %bb.119:
	v_mov_b32_e32 v1, 0
	v_mov_b32_e32 v13, s4
	;; [unrolled: 1-line block ×3, first 2 shown]
	s_clause 0x1
	global_load_dwordx2 v[15:16], v1, s[2:3] offset:32 glc dlc
	global_load_dwordx2 v[3:4], v1, s[2:3] offset:40
	s_waitcnt vmcnt(0)
	v_readfirstlane_b32 s8, v3
	v_readfirstlane_b32 s9, v4
	s_and_b64 s[8:9], s[8:9], s[4:5]
	s_mul_i32 s9, s9, 24
	s_mul_hi_u32 s10, s8, 24
	s_mul_i32 s8, s8, 24
	s_add_i32 s10, s10, s9
	v_add_co_u32 v7, vcc_lo, v7, s8
	v_add_co_ci_u32_e64 v8, null, s10, v8, vcc_lo
	s_mov_b32 s8, exec_lo
	global_store_dwordx2 v[7:8], v[15:16], off
	s_waitcnt_vscnt null, 0x0
	global_atomic_cmpswap_x2 v[5:6], v1, v[13:16], s[2:3] offset:32 glc
	s_waitcnt vmcnt(0)
	v_cmpx_ne_u64_e64 v[5:6], v[15:16]
	s_cbranch_execz .LBB1_122
; %bb.120:
	s_mov_b32 s9, 0
.LBB1_121:                              ; =>This Inner Loop Header: Depth=1
	v_mov_b32_e32 v3, s4
	v_mov_b32_e32 v4, s5
	s_sleep 1
	global_store_dwordx2 v[7:8], v[5:6], off
	s_waitcnt_vscnt null, 0x0
	global_atomic_cmpswap_x2 v[3:4], v1, v[3:6], s[2:3] offset:32 glc
	s_waitcnt vmcnt(0)
	v_cmp_eq_u64_e32 vcc_lo, v[3:4], v[5:6]
	v_mov_b32_e32 v6, v4
	v_mov_b32_e32 v5, v3
	s_or_b32 s9, vcc_lo, s9
	s_andn2_b32 exec_lo, exec_lo, s9
	s_cbranch_execnz .LBB1_121
.LBB1_122:
	s_or_b32 exec_lo, exec_lo, s8
	v_mov_b32_e32 v6, 0
	s_mov_b32 s9, exec_lo
	s_mov_b32 s8, exec_lo
	v_mbcnt_lo_u32_b32 v1, s9, 0
	global_load_dwordx2 v[3:4], v6, s[2:3] offset:16
	v_cmpx_eq_u32_e32 0, v1
	s_cbranch_execz .LBB1_124
; %bb.123:
	s_bcnt1_i32_b32 s9, s9
	v_mov_b32_e32 v5, s9
	s_waitcnt vmcnt(0)
	global_atomic_add_x2 v[3:4], v[5:6], off offset:8
.LBB1_124:
	s_or_b32 exec_lo, exec_lo, s8
	s_waitcnt vmcnt(0)
	global_load_dwordx2 v[5:6], v[3:4], off offset:16
	s_waitcnt vmcnt(0)
	v_cmp_eq_u64_e32 vcc_lo, 0, v[5:6]
	s_cbranch_vccnz .LBB1_126
; %bb.125:
	global_load_dword v3, v[3:4], off offset:24
	v_mov_b32_e32 v4, 0
	s_waitcnt vmcnt(0)
	v_readfirstlane_b32 s8, v3
	s_waitcnt_vscnt null, 0x0
	global_store_dwordx2 v[5:6], v[3:4], off
	s_and_b32 m0, s8, 0x7fffff
	s_sendmsg sendmsg(MSG_INTERRUPT)
.LBB1_126:
	s_or_b32 exec_lo, exec_lo, s1
	s_branch .LBB1_130
	.p2align	6
.LBB1_127:                              ;   in Loop: Header=BB1_130 Depth=1
	s_or_b32 exec_lo, exec_lo, s1
	v_readfirstlane_b32 s1, v1
	s_cmp_eq_u32 s1, 0
	s_cbranch_scc1 .LBB1_129
; %bb.128:                              ;   in Loop: Header=BB1_130 Depth=1
	s_sleep 1
	s_cbranch_execnz .LBB1_130
	s_branch .LBB1_132
	.p2align	6
.LBB1_129:
	s_branch .LBB1_132
.LBB1_130:                              ; =>This Inner Loop Header: Depth=1
	v_mov_b32_e32 v1, 1
	s_and_saveexec_b32 s1, s0
	s_cbranch_execz .LBB1_127
; %bb.131:                              ;   in Loop: Header=BB1_130 Depth=1
	global_load_dword v1, v[11:12], off offset:20 glc dlc
	s_waitcnt vmcnt(0)
	buffer_gl1_inv
	buffer_gl0_inv
	v_and_b32_e32 v1, 1, v1
	s_branch .LBB1_127
.LBB1_132:
	global_load_dwordx2 v[5:6], v[9:10], off
	s_and_saveexec_b32 s8, s0
	s_cbranch_execz .LBB1_136
; %bb.133:
	v_mov_b32_e32 v1, 0
	s_clause 0x2
	global_load_dwordx2 v[3:4], v1, s[2:3] offset:40
	global_load_dwordx2 v[11:12], v1, s[2:3] offset:24 glc dlc
	global_load_dwordx2 v[7:8], v1, s[2:3]
	s_waitcnt vmcnt(2)
	v_readfirstlane_b32 s10, v3
	v_readfirstlane_b32 s11, v4
	s_add_u32 s9, s10, 1
	s_addc_u32 s12, s11, 0
	s_add_u32 s0, s9, s4
	s_addc_u32 s1, s12, s5
	s_cmp_eq_u64 s[0:1], 0
	s_cselect_b32 s1, s12, s1
	s_cselect_b32 s0, s9, s0
	v_mov_b32_e32 v10, s1
	s_and_b64 s[4:5], s[0:1], s[10:11]
	v_mov_b32_e32 v9, s0
	s_mul_i32 s5, s5, 24
	s_mul_hi_u32 s9, s4, 24
	s_mul_i32 s4, s4, 24
	s_add_i32 s9, s9, s5
	s_waitcnt vmcnt(0)
	v_add_co_u32 v3, vcc_lo, v7, s4
	v_add_co_ci_u32_e64 v4, null, s9, v8, vcc_lo
	global_store_dwordx2 v[3:4], v[11:12], off
	s_waitcnt_vscnt null, 0x0
	global_atomic_cmpswap_x2 v[9:10], v1, v[9:12], s[2:3] offset:24 glc
	s_waitcnt vmcnt(0)
	v_cmp_ne_u64_e32 vcc_lo, v[9:10], v[11:12]
	s_and_b32 exec_lo, exec_lo, vcc_lo
	s_cbranch_execz .LBB1_136
; %bb.134:
	s_mov_b32 s4, 0
.LBB1_135:                              ; =>This Inner Loop Header: Depth=1
	v_mov_b32_e32 v7, s0
	v_mov_b32_e32 v8, s1
	s_sleep 1
	global_store_dwordx2 v[3:4], v[9:10], off
	s_waitcnt_vscnt null, 0x0
	global_atomic_cmpswap_x2 v[7:8], v1, v[7:10], s[2:3] offset:24 glc
	s_waitcnt vmcnt(0)
	v_cmp_eq_u64_e32 vcc_lo, v[7:8], v[9:10]
	v_mov_b32_e32 v10, v8
	v_mov_b32_e32 v9, v7
	s_or_b32 s4, vcc_lo, s4
	s_andn2_b32 exec_lo, exec_lo, s4
	s_cbranch_execnz .LBB1_135
.LBB1_136:
	s_or_b32 exec_lo, exec_lo, s8
.LBB1_137:
	v_readfirstlane_b32 s0, v32
	s_waitcnt vmcnt(0)
	v_mov_b32_e32 v3, 0
	v_mov_b32_e32 v4, 0
	v_cmp_eq_u32_e64 s0, s0, v32
	s_and_saveexec_b32 s1, s0
	s_cbranch_execz .LBB1_143
; %bb.138:
	v_mov_b32_e32 v1, 0
	s_mov_b32 s4, exec_lo
	global_load_dwordx2 v[9:10], v1, s[2:3] offset:24 glc dlc
	s_waitcnt vmcnt(0)
	buffer_gl1_inv
	buffer_gl0_inv
	s_clause 0x1
	global_load_dwordx2 v[3:4], v1, s[2:3] offset:40
	global_load_dwordx2 v[7:8], v1, s[2:3]
	s_waitcnt vmcnt(1)
	v_and_b32_e32 v4, v4, v10
	v_and_b32_e32 v3, v3, v9
	v_mul_lo_u32 v4, v4, 24
	v_mul_hi_u32 v11, v3, 24
	v_mul_lo_u32 v3, v3, 24
	v_add_nc_u32_e32 v4, v11, v4
	s_waitcnt vmcnt(0)
	v_add_co_u32 v3, vcc_lo, v7, v3
	v_add_co_ci_u32_e64 v4, null, v8, v4, vcc_lo
	global_load_dwordx2 v[7:8], v[3:4], off glc dlc
	s_waitcnt vmcnt(0)
	global_atomic_cmpswap_x2 v[3:4], v1, v[7:10], s[2:3] offset:24 glc
	s_waitcnt vmcnt(0)
	buffer_gl1_inv
	buffer_gl0_inv
	v_cmpx_ne_u64_e64 v[3:4], v[9:10]
	s_cbranch_execz .LBB1_142
; %bb.139:
	s_mov_b32 s5, 0
	.p2align	6
.LBB1_140:                              ; =>This Inner Loop Header: Depth=1
	s_sleep 1
	s_clause 0x1
	global_load_dwordx2 v[7:8], v1, s[2:3] offset:40
	global_load_dwordx2 v[11:12], v1, s[2:3]
	v_mov_b32_e32 v10, v4
	v_mov_b32_e32 v9, v3
	s_waitcnt vmcnt(1)
	v_and_b32_e32 v3, v7, v9
	v_and_b32_e32 v7, v8, v10
	s_waitcnt vmcnt(0)
	v_mad_u64_u32 v[3:4], null, v3, 24, v[11:12]
	v_mad_u64_u32 v[7:8], null, v7, 24, v[4:5]
	v_mov_b32_e32 v4, v7
	global_load_dwordx2 v[7:8], v[3:4], off glc dlc
	s_waitcnt vmcnt(0)
	global_atomic_cmpswap_x2 v[3:4], v1, v[7:10], s[2:3] offset:24 glc
	s_waitcnt vmcnt(0)
	buffer_gl1_inv
	buffer_gl0_inv
	v_cmp_eq_u64_e32 vcc_lo, v[3:4], v[9:10]
	s_or_b32 s5, vcc_lo, s5
	s_andn2_b32 exec_lo, exec_lo, s5
	s_cbranch_execnz .LBB1_140
; %bb.141:
	s_or_b32 exec_lo, exec_lo, s5
.LBB1_142:
	s_or_b32 exec_lo, exec_lo, s4
.LBB1_143:
	s_or_b32 exec_lo, exec_lo, s1
	v_mov_b32_e32 v8, 0
	v_readfirstlane_b32 s5, v4
	v_readfirstlane_b32 s4, v3
	s_mov_b32 s1, exec_lo
	s_clause 0x1
	global_load_dwordx2 v[13:14], v8, s[2:3] offset:40
	global_load_dwordx4 v[9:12], v8, s[2:3]
	s_waitcnt vmcnt(1)
	v_readfirstlane_b32 s8, v13
	v_readfirstlane_b32 s9, v14
	s_and_b64 s[8:9], s[8:9], s[4:5]
	s_mul_i32 s10, s9, 24
	s_mul_hi_u32 s11, s8, 24
	s_mul_i32 s12, s8, 24
	s_add_i32 s11, s11, s10
	s_waitcnt vmcnt(0)
	v_add_co_u32 v13, vcc_lo, v9, s12
	v_add_co_ci_u32_e64 v14, null, s11, v10, vcc_lo
	s_and_saveexec_b32 s10, s0
	s_cbranch_execz .LBB1_145
; %bb.144:
	v_mov_b32_e32 v7, s1
	v_mov_b32_e32 v16, v8
	;; [unrolled: 1-line block ×5, first 2 shown]
	global_store_dwordx4 v[13:14], v[15:18], off offset:8
.LBB1_145:
	s_or_b32 exec_lo, exec_lo, s10
	s_lshl_b64 s[8:9], s[8:9], 12
	v_mov_b32_e32 v7, v0
	v_add_co_u32 v1, vcc_lo, v11, s8
	v_add_co_ci_u32_e64 v3, null, s9, v12, vcc_lo
	s_mov_b32 s8, 0
	v_add_co_u32 v0, vcc_lo, v1, v31
	s_mov_b32 s11, s8
	s_mov_b32 s9, s8
	;; [unrolled: 1-line block ×3, first 2 shown]
	v_and_or_b32 v5, 0xffffff1f, v5, 32
	v_readfirstlane_b32 s12, v1
	v_readfirstlane_b32 s13, v3
	v_mov_b32_e32 v18, s11
	v_add_co_ci_u32_e64 v1, null, 0, v3, vcc_lo
	v_mov_b32_e32 v17, s10
	v_mov_b32_e32 v16, s9
	;; [unrolled: 1-line block ×3, first 2 shown]
	global_store_dwordx4 v31, v[5:8], s[12:13]
	global_store_dwordx4 v31, v[15:18], s[12:13] offset:16
	global_store_dwordx4 v31, v[15:18], s[12:13] offset:32
	;; [unrolled: 1-line block ×3, first 2 shown]
	s_and_saveexec_b32 s1, s0
	s_cbranch_execz .LBB1_153
; %bb.146:
	v_mov_b32_e32 v11, 0
	v_mov_b32_e32 v15, s4
	;; [unrolled: 1-line block ×3, first 2 shown]
	s_clause 0x1
	global_load_dwordx2 v[17:18], v11, s[2:3] offset:32 glc dlc
	global_load_dwordx2 v[3:4], v11, s[2:3] offset:40
	s_waitcnt vmcnt(0)
	v_readfirstlane_b32 s8, v3
	v_readfirstlane_b32 s9, v4
	s_and_b64 s[8:9], s[8:9], s[4:5]
	s_mul_i32 s9, s9, 24
	s_mul_hi_u32 s10, s8, 24
	s_mul_i32 s8, s8, 24
	s_add_i32 s10, s10, s9
	v_add_co_u32 v7, vcc_lo, v9, s8
	v_add_co_ci_u32_e64 v8, null, s10, v10, vcc_lo
	s_mov_b32 s8, exec_lo
	global_store_dwordx2 v[7:8], v[17:18], off
	s_waitcnt_vscnt null, 0x0
	global_atomic_cmpswap_x2 v[5:6], v11, v[15:18], s[2:3] offset:32 glc
	s_waitcnt vmcnt(0)
	v_cmpx_ne_u64_e64 v[5:6], v[17:18]
	s_cbranch_execz .LBB1_149
; %bb.147:
	s_mov_b32 s9, 0
.LBB1_148:                              ; =>This Inner Loop Header: Depth=1
	v_mov_b32_e32 v3, s4
	v_mov_b32_e32 v4, s5
	s_sleep 1
	global_store_dwordx2 v[7:8], v[5:6], off
	s_waitcnt_vscnt null, 0x0
	global_atomic_cmpswap_x2 v[3:4], v11, v[3:6], s[2:3] offset:32 glc
	s_waitcnt vmcnt(0)
	v_cmp_eq_u64_e32 vcc_lo, v[3:4], v[5:6]
	v_mov_b32_e32 v6, v4
	v_mov_b32_e32 v5, v3
	s_or_b32 s9, vcc_lo, s9
	s_andn2_b32 exec_lo, exec_lo, s9
	s_cbranch_execnz .LBB1_148
.LBB1_149:
	s_or_b32 exec_lo, exec_lo, s8
	v_mov_b32_e32 v6, 0
	s_mov_b32 s9, exec_lo
	s_mov_b32 s8, exec_lo
	v_mbcnt_lo_u32_b32 v5, s9, 0
	global_load_dwordx2 v[3:4], v6, s[2:3] offset:16
	v_cmpx_eq_u32_e32 0, v5
	s_cbranch_execz .LBB1_151
; %bb.150:
	s_bcnt1_i32_b32 s9, s9
	v_mov_b32_e32 v5, s9
	s_waitcnt vmcnt(0)
	global_atomic_add_x2 v[3:4], v[5:6], off offset:8
.LBB1_151:
	s_or_b32 exec_lo, exec_lo, s8
	s_waitcnt vmcnt(0)
	global_load_dwordx2 v[5:6], v[3:4], off offset:16
	s_waitcnt vmcnt(0)
	v_cmp_eq_u64_e32 vcc_lo, 0, v[5:6]
	s_cbranch_vccnz .LBB1_153
; %bb.152:
	global_load_dword v3, v[3:4], off offset:24
	v_mov_b32_e32 v4, 0
	s_waitcnt vmcnt(0)
	v_readfirstlane_b32 s8, v3
	s_waitcnt_vscnt null, 0x0
	global_store_dwordx2 v[5:6], v[3:4], off
	s_and_b32 m0, s8, 0x7fffff
	s_sendmsg sendmsg(MSG_INTERRUPT)
.LBB1_153:
	s_or_b32 exec_lo, exec_lo, s1
	s_branch .LBB1_157
	.p2align	6
.LBB1_154:                              ;   in Loop: Header=BB1_157 Depth=1
	s_or_b32 exec_lo, exec_lo, s1
	v_readfirstlane_b32 s1, v3
	s_cmp_eq_u32 s1, 0
	s_cbranch_scc1 .LBB1_156
; %bb.155:                              ;   in Loop: Header=BB1_157 Depth=1
	s_sleep 1
	s_cbranch_execnz .LBB1_157
	s_branch .LBB1_159
	.p2align	6
.LBB1_156:
	s_branch .LBB1_159
.LBB1_157:                              ; =>This Inner Loop Header: Depth=1
	v_mov_b32_e32 v3, 1
	s_and_saveexec_b32 s1, s0
	s_cbranch_execz .LBB1_154
; %bb.158:                              ;   in Loop: Header=BB1_157 Depth=1
	global_load_dword v3, v[13:14], off offset:20 glc dlc
	s_waitcnt vmcnt(0)
	buffer_gl1_inv
	buffer_gl0_inv
	v_and_b32_e32 v3, 1, v3
	s_branch .LBB1_154
.LBB1_159:
	global_load_dwordx2 v[0:1], v[0:1], off
	s_and_saveexec_b32 s8, s0
	s_cbranch_execz .LBB1_163
; %bb.160:
	v_mov_b32_e32 v9, 0
	s_clause 0x2
	global_load_dwordx2 v[3:4], v9, s[2:3] offset:40
	global_load_dwordx2 v[12:13], v9, s[2:3] offset:24 glc dlc
	global_load_dwordx2 v[5:6], v9, s[2:3]
	s_waitcnt vmcnt(2)
	v_readfirstlane_b32 s10, v3
	v_readfirstlane_b32 s11, v4
	s_add_u32 s9, s10, 1
	s_addc_u32 s12, s11, 0
	s_add_u32 s0, s9, s4
	s_addc_u32 s1, s12, s5
	s_cmp_eq_u64 s[0:1], 0
	s_cselect_b32 s1, s12, s1
	s_cselect_b32 s0, s9, s0
	v_mov_b32_e32 v11, s1
	s_and_b64 s[4:5], s[0:1], s[10:11]
	v_mov_b32_e32 v10, s0
	s_mul_i32 s5, s5, 24
	s_mul_hi_u32 s9, s4, 24
	s_mul_i32 s4, s4, 24
	s_add_i32 s9, s9, s5
	s_waitcnt vmcnt(0)
	v_add_co_u32 v7, vcc_lo, v5, s4
	v_add_co_ci_u32_e64 v8, null, s9, v6, vcc_lo
	global_store_dwordx2 v[7:8], v[12:13], off
	s_waitcnt_vscnt null, 0x0
	global_atomic_cmpswap_x2 v[5:6], v9, v[10:13], s[2:3] offset:24 glc
	s_waitcnt vmcnt(0)
	v_cmp_ne_u64_e32 vcc_lo, v[5:6], v[12:13]
	s_and_b32 exec_lo, exec_lo, vcc_lo
	s_cbranch_execz .LBB1_163
; %bb.161:
	s_mov_b32 s4, 0
.LBB1_162:                              ; =>This Inner Loop Header: Depth=1
	v_mov_b32_e32 v3, s0
	v_mov_b32_e32 v4, s1
	s_sleep 1
	global_store_dwordx2 v[7:8], v[5:6], off
	s_waitcnt_vscnt null, 0x0
	global_atomic_cmpswap_x2 v[3:4], v9, v[3:6], s[2:3] offset:24 glc
	s_waitcnt vmcnt(0)
	v_cmp_eq_u64_e32 vcc_lo, v[3:4], v[5:6]
	v_mov_b32_e32 v6, v4
	v_mov_b32_e32 v5, v3
	s_or_b32 s4, vcc_lo, s4
	s_andn2_b32 exec_lo, exec_lo, s4
	s_cbranch_execnz .LBB1_162
.LBB1_163:
	s_or_b32 exec_lo, exec_lo, s8
	v_readfirstlane_b32 s0, v32
	v_mov_b32_e32 v8, 0
	v_mov_b32_e32 v9, 0
	v_cmp_eq_u32_e64 s0, s0, v32
	s_and_saveexec_b32 s1, s0
	s_cbranch_execz .LBB1_169
; %bb.164:
	v_mov_b32_e32 v3, 0
	s_mov_b32 s4, exec_lo
	global_load_dwordx2 v[6:7], v3, s[2:3] offset:24 glc dlc
	s_waitcnt vmcnt(0)
	buffer_gl1_inv
	buffer_gl0_inv
	s_clause 0x1
	global_load_dwordx2 v[4:5], v3, s[2:3] offset:40
	global_load_dwordx2 v[8:9], v3, s[2:3]
	s_waitcnt vmcnt(1)
	v_and_b32_e32 v5, v5, v7
	v_and_b32_e32 v4, v4, v6
	v_mul_lo_u32 v5, v5, 24
	v_mul_hi_u32 v10, v4, 24
	v_mul_lo_u32 v4, v4, 24
	v_add_nc_u32_e32 v5, v10, v5
	s_waitcnt vmcnt(0)
	v_add_co_u32 v4, vcc_lo, v8, v4
	v_add_co_ci_u32_e64 v5, null, v9, v5, vcc_lo
	global_load_dwordx2 v[4:5], v[4:5], off glc dlc
	s_waitcnt vmcnt(0)
	global_atomic_cmpswap_x2 v[8:9], v3, v[4:7], s[2:3] offset:24 glc
	s_waitcnt vmcnt(0)
	buffer_gl1_inv
	buffer_gl0_inv
	v_cmpx_ne_u64_e64 v[8:9], v[6:7]
	s_cbranch_execz .LBB1_168
; %bb.165:
	s_mov_b32 s5, 0
	.p2align	6
.LBB1_166:                              ; =>This Inner Loop Header: Depth=1
	s_sleep 1
	s_clause 0x1
	global_load_dwordx2 v[4:5], v3, s[2:3] offset:40
	global_load_dwordx2 v[10:11], v3, s[2:3]
	v_mov_b32_e32 v6, v8
	v_mov_b32_e32 v7, v9
	s_waitcnt vmcnt(1)
	v_and_b32_e32 v4, v4, v6
	v_and_b32_e32 v5, v5, v7
	s_waitcnt vmcnt(0)
	v_mad_u64_u32 v[8:9], null, v4, 24, v[10:11]
	v_mov_b32_e32 v4, v9
	v_mad_u64_u32 v[4:5], null, v5, 24, v[4:5]
	v_mov_b32_e32 v9, v4
	global_load_dwordx2 v[4:5], v[8:9], off glc dlc
	s_waitcnt vmcnt(0)
	global_atomic_cmpswap_x2 v[8:9], v3, v[4:7], s[2:3] offset:24 glc
	s_waitcnt vmcnt(0)
	buffer_gl1_inv
	buffer_gl0_inv
	v_cmp_eq_u64_e32 vcc_lo, v[8:9], v[6:7]
	s_or_b32 s5, vcc_lo, s5
	s_andn2_b32 exec_lo, exec_lo, s5
	s_cbranch_execnz .LBB1_166
; %bb.167:
	s_or_b32 exec_lo, exec_lo, s5
.LBB1_168:
	s_or_b32 exec_lo, exec_lo, s4
.LBB1_169:
	s_or_b32 exec_lo, exec_lo, s1
	v_mov_b32_e32 v3, 0
	v_readfirstlane_b32 s5, v9
	v_readfirstlane_b32 s4, v8
	s_mov_b32 s1, exec_lo
	s_clause 0x1
	global_load_dwordx2 v[10:11], v3, s[2:3] offset:40
	global_load_dwordx4 v[4:7], v3, s[2:3]
	s_waitcnt vmcnt(1)
	v_readfirstlane_b32 s8, v10
	v_readfirstlane_b32 s9, v11
	s_and_b64 s[8:9], s[8:9], s[4:5]
	s_mul_i32 s10, s9, 24
	s_mul_hi_u32 s11, s8, 24
	s_mul_i32 s12, s8, 24
	s_add_i32 s11, s11, s10
	s_waitcnt vmcnt(0)
	v_add_co_u32 v8, vcc_lo, v4, s12
	v_add_co_ci_u32_e64 v9, null, s11, v5, vcc_lo
	s_and_saveexec_b32 s10, s0
	s_cbranch_execz .LBB1_171
; %bb.170:
	v_mov_b32_e32 v10, s1
	v_mov_b32_e32 v11, v3
	;; [unrolled: 1-line block ×4, first 2 shown]
	global_store_dwordx4 v[8:9], v[10:13], off offset:8
.LBB1_171:
	s_or_b32 exec_lo, exec_lo, s10
	s_lshl_b64 s[8:9], s[8:9], 12
	v_and_or_b32 v0, 0xffffff1f, v0, 32
	v_add_co_u32 v6, vcc_lo, v6, s8
	v_add_co_ci_u32_e64 v7, null, s9, v7, vcc_lo
	s_mov_b32 s8, 0
	v_readfirstlane_b32 s12, v6
	s_mov_b32 s11, s8
	v_add_co_u32 v6, vcc_lo, v6, v31
	s_mov_b32 s9, s8
	s_mov_b32 s10, s8
	v_readfirstlane_b32 s13, v7
	v_mov_b32_e32 v13, s11
	v_add_co_ci_u32_e64 v7, null, 0, v7, vcc_lo
	v_mov_b32_e32 v12, s10
	v_mov_b32_e32 v11, s9
	;; [unrolled: 1-line block ×3, first 2 shown]
	global_store_dwordx4 v31, v[0:3], s[12:13]
	global_store_dwordx4 v31, v[10:13], s[12:13] offset:16
	global_store_dwordx4 v31, v[10:13], s[12:13] offset:32
	;; [unrolled: 1-line block ×3, first 2 shown]
	s_and_saveexec_b32 s1, s0
	s_cbranch_execz .LBB1_179
; %bb.172:
	v_mov_b32_e32 v10, 0
	v_mov_b32_e32 v11, s4
	;; [unrolled: 1-line block ×3, first 2 shown]
	s_clause 0x1
	global_load_dwordx2 v[13:14], v10, s[2:3] offset:32 glc dlc
	global_load_dwordx2 v[0:1], v10, s[2:3] offset:40
	s_waitcnt vmcnt(0)
	v_readfirstlane_b32 s8, v0
	v_readfirstlane_b32 s9, v1
	s_and_b64 s[8:9], s[8:9], s[4:5]
	s_mul_i32 s9, s9, 24
	s_mul_hi_u32 s10, s8, 24
	s_mul_i32 s8, s8, 24
	s_add_i32 s10, s10, s9
	v_add_co_u32 v4, vcc_lo, v4, s8
	v_add_co_ci_u32_e64 v5, null, s10, v5, vcc_lo
	s_mov_b32 s8, exec_lo
	global_store_dwordx2 v[4:5], v[13:14], off
	s_waitcnt_vscnt null, 0x0
	global_atomic_cmpswap_x2 v[2:3], v10, v[11:14], s[2:3] offset:32 glc
	s_waitcnt vmcnt(0)
	v_cmpx_ne_u64_e64 v[2:3], v[13:14]
	s_cbranch_execz .LBB1_175
; %bb.173:
	s_mov_b32 s9, 0
.LBB1_174:                              ; =>This Inner Loop Header: Depth=1
	v_mov_b32_e32 v0, s4
	v_mov_b32_e32 v1, s5
	s_sleep 1
	global_store_dwordx2 v[4:5], v[2:3], off
	s_waitcnt_vscnt null, 0x0
	global_atomic_cmpswap_x2 v[0:1], v10, v[0:3], s[2:3] offset:32 glc
	s_waitcnt vmcnt(0)
	v_cmp_eq_u64_e32 vcc_lo, v[0:1], v[2:3]
	v_mov_b32_e32 v3, v1
	v_mov_b32_e32 v2, v0
	s_or_b32 s9, vcc_lo, s9
	s_andn2_b32 exec_lo, exec_lo, s9
	s_cbranch_execnz .LBB1_174
.LBB1_175:
	s_or_b32 exec_lo, exec_lo, s8
	v_mov_b32_e32 v3, 0
	s_mov_b32 s9, exec_lo
	s_mov_b32 s8, exec_lo
	v_mbcnt_lo_u32_b32 v2, s9, 0
	global_load_dwordx2 v[0:1], v3, s[2:3] offset:16
	v_cmpx_eq_u32_e32 0, v2
	s_cbranch_execz .LBB1_177
; %bb.176:
	s_bcnt1_i32_b32 s9, s9
	v_mov_b32_e32 v2, s9
	s_waitcnt vmcnt(0)
	global_atomic_add_x2 v[0:1], v[2:3], off offset:8
.LBB1_177:
	s_or_b32 exec_lo, exec_lo, s8
	s_waitcnt vmcnt(0)
	global_load_dwordx2 v[2:3], v[0:1], off offset:16
	s_waitcnt vmcnt(0)
	v_cmp_eq_u64_e32 vcc_lo, 0, v[2:3]
	s_cbranch_vccnz .LBB1_179
; %bb.178:
	global_load_dword v0, v[0:1], off offset:24
	v_mov_b32_e32 v1, 0
	s_waitcnt vmcnt(0)
	v_readfirstlane_b32 s8, v0
	s_waitcnt_vscnt null, 0x0
	global_store_dwordx2 v[2:3], v[0:1], off
	s_and_b32 m0, s8, 0x7fffff
	s_sendmsg sendmsg(MSG_INTERRUPT)
.LBB1_179:
	s_or_b32 exec_lo, exec_lo, s1
	s_branch .LBB1_183
	.p2align	6
.LBB1_180:                              ;   in Loop: Header=BB1_183 Depth=1
	s_or_b32 exec_lo, exec_lo, s1
	v_readfirstlane_b32 s1, v0
	s_cmp_eq_u32 s1, 0
	s_cbranch_scc1 .LBB1_182
; %bb.181:                              ;   in Loop: Header=BB1_183 Depth=1
	s_sleep 1
	s_cbranch_execnz .LBB1_183
	s_branch .LBB1_185
	.p2align	6
.LBB1_182:
	s_branch .LBB1_185
.LBB1_183:                              ; =>This Inner Loop Header: Depth=1
	v_mov_b32_e32 v0, 1
	s_and_saveexec_b32 s1, s0
	s_cbranch_execz .LBB1_180
; %bb.184:                              ;   in Loop: Header=BB1_183 Depth=1
	global_load_dword v0, v[8:9], off offset:20 glc dlc
	s_waitcnt vmcnt(0)
	buffer_gl1_inv
	buffer_gl0_inv
	v_and_b32_e32 v0, 1, v0
	s_branch .LBB1_180
.LBB1_185:
	global_load_dwordx2 v[0:1], v[6:7], off
	s_and_saveexec_b32 s8, s0
	s_cbranch_execz .LBB1_189
; %bb.186:
	v_mov_b32_e32 v8, 0
	s_clause 0x2
	global_load_dwordx2 v[2:3], v8, s[2:3] offset:40
	global_load_dwordx2 v[11:12], v8, s[2:3] offset:24 glc dlc
	global_load_dwordx2 v[4:5], v8, s[2:3]
	s_waitcnt vmcnt(2)
	v_readfirstlane_b32 s10, v2
	v_readfirstlane_b32 s11, v3
	s_add_u32 s9, s10, 1
	s_addc_u32 s12, s11, 0
	s_add_u32 s0, s9, s4
	s_addc_u32 s1, s12, s5
	s_cmp_eq_u64 s[0:1], 0
	s_cselect_b32 s1, s12, s1
	s_cselect_b32 s0, s9, s0
	v_mov_b32_e32 v10, s1
	s_and_b64 s[4:5], s[0:1], s[10:11]
	v_mov_b32_e32 v9, s0
	s_mul_i32 s5, s5, 24
	s_mul_hi_u32 s9, s4, 24
	s_mul_i32 s4, s4, 24
	s_add_i32 s9, s9, s5
	s_waitcnt vmcnt(0)
	v_add_co_u32 v6, vcc_lo, v4, s4
	v_add_co_ci_u32_e64 v7, null, s9, v5, vcc_lo
	global_store_dwordx2 v[6:7], v[11:12], off
	s_waitcnt_vscnt null, 0x0
	global_atomic_cmpswap_x2 v[4:5], v8, v[9:12], s[2:3] offset:24 glc
	s_waitcnt vmcnt(0)
	v_cmp_ne_u64_e32 vcc_lo, v[4:5], v[11:12]
	s_and_b32 exec_lo, exec_lo, vcc_lo
	s_cbranch_execz .LBB1_189
; %bb.187:
	s_mov_b32 s4, 0
.LBB1_188:                              ; =>This Inner Loop Header: Depth=1
	v_mov_b32_e32 v2, s0
	v_mov_b32_e32 v3, s1
	s_sleep 1
	global_store_dwordx2 v[6:7], v[4:5], off
	s_waitcnt_vscnt null, 0x0
	global_atomic_cmpswap_x2 v[2:3], v8, v[2:5], s[2:3] offset:24 glc
	s_waitcnt vmcnt(0)
	v_cmp_eq_u64_e32 vcc_lo, v[2:3], v[4:5]
	v_mov_b32_e32 v5, v3
	v_mov_b32_e32 v4, v2
	s_or_b32 s4, vcc_lo, s4
	s_andn2_b32 exec_lo, exec_lo, s4
	s_cbranch_execnz .LBB1_188
.LBB1_189:
	s_or_b32 exec_lo, exec_lo, s8
	v_readfirstlane_b32 s0, v32
	v_mov_b32_e32 v8, 0
	v_mov_b32_e32 v9, 0
	v_cmp_eq_u32_e64 s0, s0, v32
	s_and_saveexec_b32 s1, s0
	s_cbranch_execz .LBB1_195
; %bb.190:
	v_mov_b32_e32 v2, 0
	s_mov_b32 s4, exec_lo
	global_load_dwordx2 v[5:6], v2, s[2:3] offset:24 glc dlc
	s_waitcnt vmcnt(0)
	buffer_gl1_inv
	buffer_gl0_inv
	s_clause 0x1
	global_load_dwordx2 v[3:4], v2, s[2:3] offset:40
	global_load_dwordx2 v[7:8], v2, s[2:3]
	s_waitcnt vmcnt(1)
	v_and_b32_e32 v4, v4, v6
	v_and_b32_e32 v3, v3, v5
	v_mul_lo_u32 v4, v4, 24
	v_mul_hi_u32 v9, v3, 24
	v_mul_lo_u32 v3, v3, 24
	v_add_nc_u32_e32 v4, v9, v4
	s_waitcnt vmcnt(0)
	v_add_co_u32 v3, vcc_lo, v7, v3
	v_add_co_ci_u32_e64 v4, null, v8, v4, vcc_lo
	global_load_dwordx2 v[3:4], v[3:4], off glc dlc
	s_waitcnt vmcnt(0)
	global_atomic_cmpswap_x2 v[8:9], v2, v[3:6], s[2:3] offset:24 glc
	s_waitcnt vmcnt(0)
	buffer_gl1_inv
	buffer_gl0_inv
	v_cmpx_ne_u64_e64 v[8:9], v[5:6]
	s_cbranch_execz .LBB1_194
; %bb.191:
	s_mov_b32 s5, 0
	.p2align	6
.LBB1_192:                              ; =>This Inner Loop Header: Depth=1
	s_sleep 1
	s_clause 0x1
	global_load_dwordx2 v[3:4], v2, s[2:3] offset:40
	global_load_dwordx2 v[10:11], v2, s[2:3]
	v_mov_b32_e32 v5, v8
	v_mov_b32_e32 v6, v9
	s_waitcnt vmcnt(1)
	v_and_b32_e32 v3, v3, v5
	v_and_b32_e32 v4, v4, v6
	s_waitcnt vmcnt(0)
	v_mad_u64_u32 v[7:8], null, v3, 24, v[10:11]
	v_mov_b32_e32 v3, v8
	v_mad_u64_u32 v[3:4], null, v4, 24, v[3:4]
	v_mov_b32_e32 v8, v3
	global_load_dwordx2 v[3:4], v[7:8], off glc dlc
	s_waitcnt vmcnt(0)
	global_atomic_cmpswap_x2 v[8:9], v2, v[3:6], s[2:3] offset:24 glc
	s_waitcnt vmcnt(0)
	buffer_gl1_inv
	buffer_gl0_inv
	v_cmp_eq_u64_e32 vcc_lo, v[8:9], v[5:6]
	s_or_b32 s5, vcc_lo, s5
	s_andn2_b32 exec_lo, exec_lo, s5
	s_cbranch_execnz .LBB1_192
; %bb.193:
	s_or_b32 exec_lo, exec_lo, s5
.LBB1_194:
	s_or_b32 exec_lo, exec_lo, s4
.LBB1_195:
	s_or_b32 exec_lo, exec_lo, s1
	v_mov_b32_e32 v3, 0
	v_readfirstlane_b32 s5, v9
	v_readfirstlane_b32 s4, v8
	s_mov_b32 s1, exec_lo
	s_clause 0x1
	global_load_dwordx2 v[10:11], v3, s[2:3] offset:40
	global_load_dwordx4 v[4:7], v3, s[2:3]
	s_waitcnt vmcnt(1)
	v_readfirstlane_b32 s8, v10
	v_readfirstlane_b32 s9, v11
	s_and_b64 s[8:9], s[8:9], s[4:5]
	s_mul_i32 s10, s9, 24
	s_mul_hi_u32 s11, s8, 24
	s_mul_i32 s12, s8, 24
	s_add_i32 s11, s11, s10
	s_waitcnt vmcnt(0)
	v_add_co_u32 v8, vcc_lo, v4, s12
	v_add_co_ci_u32_e64 v9, null, s11, v5, vcc_lo
	s_and_saveexec_b32 s10, s0
	s_cbranch_execz .LBB1_197
; %bb.196:
	v_mov_b32_e32 v2, s1
	v_mov_b32_e32 v11, v3
	;; [unrolled: 1-line block ×5, first 2 shown]
	global_store_dwordx4 v[8:9], v[10:13], off offset:8
.LBB1_197:
	s_or_b32 exec_lo, exec_lo, s10
	s_lshl_b64 s[8:9], s[8:9], 12
	v_and_or_b32 v0, 0xffffff1f, v0, 32
	v_add_co_u32 v6, vcc_lo, v6, s8
	v_add_co_ci_u32_e64 v7, null, s9, v7, vcc_lo
	s_mov_b32 s8, 0
	v_readfirstlane_b32 s12, v6
	s_mov_b32 s11, s8
	v_add_co_u32 v6, vcc_lo, v6, v31
	s_mov_b32 s9, s8
	s_mov_b32 s10, s8
	v_mov_b32_e32 v2, s6
	v_readfirstlane_b32 s13, v7
	v_mov_b32_e32 v13, s11
	v_add_co_ci_u32_e64 v7, null, 0, v7, vcc_lo
	v_mov_b32_e32 v12, s10
	v_mov_b32_e32 v11, s9
	;; [unrolled: 1-line block ×3, first 2 shown]
	global_store_dwordx4 v31, v[0:3], s[12:13]
	global_store_dwordx4 v31, v[10:13], s[12:13] offset:16
	global_store_dwordx4 v31, v[10:13], s[12:13] offset:32
	;; [unrolled: 1-line block ×3, first 2 shown]
	s_and_saveexec_b32 s1, s0
	s_cbranch_execz .LBB1_205
; %bb.198:
	v_mov_b32_e32 v10, 0
	v_mov_b32_e32 v11, s4
	;; [unrolled: 1-line block ×3, first 2 shown]
	s_clause 0x1
	global_load_dwordx2 v[13:14], v10, s[2:3] offset:32 glc dlc
	global_load_dwordx2 v[0:1], v10, s[2:3] offset:40
	s_waitcnt vmcnt(0)
	v_readfirstlane_b32 s8, v0
	v_readfirstlane_b32 s9, v1
	s_and_b64 s[8:9], s[8:9], s[4:5]
	s_mul_i32 s6, s9, 24
	s_mul_hi_u32 s9, s8, 24
	s_mul_i32 s8, s8, 24
	s_add_i32 s9, s9, s6
	v_add_co_u32 v4, vcc_lo, v4, s8
	v_add_co_ci_u32_e64 v5, null, s9, v5, vcc_lo
	s_mov_b32 s6, exec_lo
	global_store_dwordx2 v[4:5], v[13:14], off
	s_waitcnt_vscnt null, 0x0
	global_atomic_cmpswap_x2 v[2:3], v10, v[11:14], s[2:3] offset:32 glc
	s_waitcnt vmcnt(0)
	v_cmpx_ne_u64_e64 v[2:3], v[13:14]
	s_cbranch_execz .LBB1_201
; %bb.199:
	s_mov_b32 s8, 0
.LBB1_200:                              ; =>This Inner Loop Header: Depth=1
	v_mov_b32_e32 v0, s4
	v_mov_b32_e32 v1, s5
	s_sleep 1
	global_store_dwordx2 v[4:5], v[2:3], off
	s_waitcnt_vscnt null, 0x0
	global_atomic_cmpswap_x2 v[0:1], v10, v[0:3], s[2:3] offset:32 glc
	s_waitcnt vmcnt(0)
	v_cmp_eq_u64_e32 vcc_lo, v[0:1], v[2:3]
	v_mov_b32_e32 v3, v1
	v_mov_b32_e32 v2, v0
	s_or_b32 s8, vcc_lo, s8
	s_andn2_b32 exec_lo, exec_lo, s8
	s_cbranch_execnz .LBB1_200
.LBB1_201:
	s_or_b32 exec_lo, exec_lo, s6
	v_mov_b32_e32 v3, 0
	s_mov_b32 s8, exec_lo
	s_mov_b32 s6, exec_lo
	v_mbcnt_lo_u32_b32 v2, s8, 0
	global_load_dwordx2 v[0:1], v3, s[2:3] offset:16
	v_cmpx_eq_u32_e32 0, v2
	s_cbranch_execz .LBB1_203
; %bb.202:
	s_bcnt1_i32_b32 s8, s8
	v_mov_b32_e32 v2, s8
	s_waitcnt vmcnt(0)
	global_atomic_add_x2 v[0:1], v[2:3], off offset:8
.LBB1_203:
	s_or_b32 exec_lo, exec_lo, s6
	s_waitcnt vmcnt(0)
	global_load_dwordx2 v[2:3], v[0:1], off offset:16
	s_waitcnt vmcnt(0)
	v_cmp_eq_u64_e32 vcc_lo, 0, v[2:3]
	s_cbranch_vccnz .LBB1_205
; %bb.204:
	global_load_dword v0, v[0:1], off offset:24
	v_mov_b32_e32 v1, 0
	s_waitcnt vmcnt(0)
	v_readfirstlane_b32 s6, v0
	s_waitcnt_vscnt null, 0x0
	global_store_dwordx2 v[2:3], v[0:1], off
	s_and_b32 m0, s6, 0x7fffff
	s_sendmsg sendmsg(MSG_INTERRUPT)
.LBB1_205:
	s_or_b32 exec_lo, exec_lo, s1
	s_branch .LBB1_209
	.p2align	6
.LBB1_206:                              ;   in Loop: Header=BB1_209 Depth=1
	s_or_b32 exec_lo, exec_lo, s1
	v_readfirstlane_b32 s1, v0
	s_cmp_eq_u32 s1, 0
	s_cbranch_scc1 .LBB1_208
; %bb.207:                              ;   in Loop: Header=BB1_209 Depth=1
	s_sleep 1
	s_cbranch_execnz .LBB1_209
	s_branch .LBB1_211
	.p2align	6
.LBB1_208:
	s_branch .LBB1_211
.LBB1_209:                              ; =>This Inner Loop Header: Depth=1
	v_mov_b32_e32 v0, 1
	s_and_saveexec_b32 s1, s0
	s_cbranch_execz .LBB1_206
; %bb.210:                              ;   in Loop: Header=BB1_209 Depth=1
	global_load_dword v0, v[8:9], off offset:20 glc dlc
	s_waitcnt vmcnt(0)
	buffer_gl1_inv
	buffer_gl0_inv
	v_and_b32_e32 v0, 1, v0
	s_branch .LBB1_206
.LBB1_211:
	global_load_dwordx2 v[0:1], v[6:7], off
	s_and_saveexec_b32 s6, s0
	s_cbranch_execz .LBB1_215
; %bb.212:
	v_mov_b32_e32 v8, 0
	s_clause 0x2
	global_load_dwordx2 v[2:3], v8, s[2:3] offset:40
	global_load_dwordx2 v[11:12], v8, s[2:3] offset:24 glc dlc
	global_load_dwordx2 v[4:5], v8, s[2:3]
	s_waitcnt vmcnt(2)
	v_readfirstlane_b32 s8, v2
	v_readfirstlane_b32 s9, v3
	s_add_u32 s10, s8, 1
	s_addc_u32 s11, s9, 0
	s_add_u32 s0, s10, s4
	s_addc_u32 s1, s11, s5
	s_cmp_eq_u64 s[0:1], 0
	s_cselect_b32 s1, s11, s1
	s_cselect_b32 s0, s10, s0
	v_mov_b32_e32 v10, s1
	s_and_b64 s[4:5], s[0:1], s[8:9]
	v_mov_b32_e32 v9, s0
	s_mul_i32 s5, s5, 24
	s_mul_hi_u32 s8, s4, 24
	s_mul_i32 s4, s4, 24
	s_add_i32 s8, s8, s5
	s_waitcnt vmcnt(0)
	v_add_co_u32 v6, vcc_lo, v4, s4
	v_add_co_ci_u32_e64 v7, null, s8, v5, vcc_lo
	global_store_dwordx2 v[6:7], v[11:12], off
	s_waitcnt_vscnt null, 0x0
	global_atomic_cmpswap_x2 v[4:5], v8, v[9:12], s[2:3] offset:24 glc
	s_waitcnt vmcnt(0)
	v_cmp_ne_u64_e32 vcc_lo, v[4:5], v[11:12]
	s_and_b32 exec_lo, exec_lo, vcc_lo
	s_cbranch_execz .LBB1_215
; %bb.213:
	s_mov_b32 s4, 0
.LBB1_214:                              ; =>This Inner Loop Header: Depth=1
	v_mov_b32_e32 v2, s0
	v_mov_b32_e32 v3, s1
	s_sleep 1
	global_store_dwordx2 v[6:7], v[4:5], off
	s_waitcnt_vscnt null, 0x0
	global_atomic_cmpswap_x2 v[2:3], v8, v[2:5], s[2:3] offset:24 glc
	s_waitcnt vmcnt(0)
	v_cmp_eq_u64_e32 vcc_lo, v[2:3], v[4:5]
	v_mov_b32_e32 v5, v3
	v_mov_b32_e32 v4, v2
	s_or_b32 s4, vcc_lo, s4
	s_andn2_b32 exec_lo, exec_lo, s4
	s_cbranch_execnz .LBB1_214
.LBB1_215:
	s_or_b32 exec_lo, exec_lo, s6
	v_readfirstlane_b32 s0, v32
	v_mov_b32_e32 v8, 0
	v_mov_b32_e32 v9, 0
	v_cmp_eq_u32_e64 s0, s0, v32
	s_and_saveexec_b32 s1, s0
	s_cbranch_execz .LBB1_221
; %bb.216:
	v_mov_b32_e32 v2, 0
	s_mov_b32 s4, exec_lo
	global_load_dwordx2 v[5:6], v2, s[2:3] offset:24 glc dlc
	s_waitcnt vmcnt(0)
	buffer_gl1_inv
	buffer_gl0_inv
	s_clause 0x1
	global_load_dwordx2 v[3:4], v2, s[2:3] offset:40
	global_load_dwordx2 v[7:8], v2, s[2:3]
	s_waitcnt vmcnt(1)
	v_and_b32_e32 v4, v4, v6
	v_and_b32_e32 v3, v3, v5
	v_mul_lo_u32 v4, v4, 24
	v_mul_hi_u32 v9, v3, 24
	v_mul_lo_u32 v3, v3, 24
	v_add_nc_u32_e32 v4, v9, v4
	s_waitcnt vmcnt(0)
	v_add_co_u32 v3, vcc_lo, v7, v3
	v_add_co_ci_u32_e64 v4, null, v8, v4, vcc_lo
	global_load_dwordx2 v[3:4], v[3:4], off glc dlc
	s_waitcnt vmcnt(0)
	global_atomic_cmpswap_x2 v[8:9], v2, v[3:6], s[2:3] offset:24 glc
	s_waitcnt vmcnt(0)
	buffer_gl1_inv
	buffer_gl0_inv
	v_cmpx_ne_u64_e64 v[8:9], v[5:6]
	s_cbranch_execz .LBB1_220
; %bb.217:
	s_mov_b32 s5, 0
	.p2align	6
.LBB1_218:                              ; =>This Inner Loop Header: Depth=1
	s_sleep 1
	s_clause 0x1
	global_load_dwordx2 v[3:4], v2, s[2:3] offset:40
	global_load_dwordx2 v[10:11], v2, s[2:3]
	v_mov_b32_e32 v5, v8
	v_mov_b32_e32 v6, v9
	s_waitcnt vmcnt(1)
	v_and_b32_e32 v3, v3, v5
	v_and_b32_e32 v4, v4, v6
	s_waitcnt vmcnt(0)
	v_mad_u64_u32 v[7:8], null, v3, 24, v[10:11]
	v_mov_b32_e32 v3, v8
	v_mad_u64_u32 v[3:4], null, v4, 24, v[3:4]
	v_mov_b32_e32 v8, v3
	global_load_dwordx2 v[3:4], v[7:8], off glc dlc
	s_waitcnt vmcnt(0)
	global_atomic_cmpswap_x2 v[8:9], v2, v[3:6], s[2:3] offset:24 glc
	s_waitcnt vmcnt(0)
	buffer_gl1_inv
	buffer_gl0_inv
	v_cmp_eq_u64_e32 vcc_lo, v[8:9], v[5:6]
	s_or_b32 s5, vcc_lo, s5
	s_andn2_b32 exec_lo, exec_lo, s5
	s_cbranch_execnz .LBB1_218
; %bb.219:
	s_or_b32 exec_lo, exec_lo, s5
.LBB1_220:
	s_or_b32 exec_lo, exec_lo, s4
.LBB1_221:
	s_or_b32 exec_lo, exec_lo, s1
	v_mov_b32_e32 v3, 0
	v_readfirstlane_b32 s5, v9
	v_readfirstlane_b32 s4, v8
	s_mov_b32 s1, exec_lo
	s_clause 0x1
	global_load_dwordx2 v[10:11], v3, s[2:3] offset:40
	global_load_dwordx4 v[4:7], v3, s[2:3]
	s_waitcnt vmcnt(1)
	v_readfirstlane_b32 s8, v10
	v_readfirstlane_b32 s9, v11
	s_and_b64 s[8:9], s[8:9], s[4:5]
	s_mul_i32 s6, s9, 24
	s_mul_hi_u32 s10, s8, 24
	s_mul_i32 s11, s8, 24
	s_add_i32 s10, s10, s6
	s_waitcnt vmcnt(0)
	v_add_co_u32 v8, vcc_lo, v4, s11
	v_add_co_ci_u32_e64 v9, null, s10, v5, vcc_lo
	s_and_saveexec_b32 s6, s0
	s_cbranch_execz .LBB1_223
; %bb.222:
	v_mov_b32_e32 v2, s1
	v_mov_b32_e32 v11, v3
	;; [unrolled: 1-line block ×5, first 2 shown]
	global_store_dwordx4 v[8:9], v[10:13], off offset:8
.LBB1_223:
	s_or_b32 exec_lo, exec_lo, s6
	s_lshl_b64 s[8:9], s[8:9], 12
	v_and_or_b32 v0, 0xffffff1d, v0, 34
	v_add_co_u32 v6, vcc_lo, v6, s8
	v_add_co_ci_u32_e64 v7, null, s9, v7, vcc_lo
	s_mov_b32 s8, 0
	v_mov_b32_e32 v2, s7
	s_mov_b32 s11, s8
	s_mov_b32 s9, s8
	s_mov_b32 s10, s8
	v_readfirstlane_b32 s6, v6
	v_readfirstlane_b32 s7, v7
	v_mov_b32_e32 v13, s11
	v_mov_b32_e32 v12, s10
	;; [unrolled: 1-line block ×4, first 2 shown]
	global_store_dwordx4 v31, v[0:3], s[6:7]
	global_store_dwordx4 v31, v[10:13], s[6:7] offset:16
	global_store_dwordx4 v31, v[10:13], s[6:7] offset:32
	global_store_dwordx4 v31, v[10:13], s[6:7] offset:48
	s_and_saveexec_b32 s1, s0
	s_cbranch_execz .LBB1_231
; %bb.224:
	v_mov_b32_e32 v6, 0
	v_mov_b32_e32 v10, s4
	v_mov_b32_e32 v11, s5
	s_clause 0x1
	global_load_dwordx2 v[12:13], v6, s[2:3] offset:32 glc dlc
	global_load_dwordx2 v[0:1], v6, s[2:3] offset:40
	s_waitcnt vmcnt(0)
	v_readfirstlane_b32 s6, v0
	v_readfirstlane_b32 s7, v1
	s_and_b64 s[6:7], s[6:7], s[4:5]
	s_mul_i32 s7, s7, 24
	s_mul_hi_u32 s8, s6, 24
	s_mul_i32 s6, s6, 24
	s_add_i32 s8, s8, s7
	v_add_co_u32 v4, vcc_lo, v4, s6
	v_add_co_ci_u32_e64 v5, null, s8, v5, vcc_lo
	s_mov_b32 s6, exec_lo
	global_store_dwordx2 v[4:5], v[12:13], off
	s_waitcnt_vscnt null, 0x0
	global_atomic_cmpswap_x2 v[2:3], v6, v[10:13], s[2:3] offset:32 glc
	s_waitcnt vmcnt(0)
	v_cmpx_ne_u64_e64 v[2:3], v[12:13]
	s_cbranch_execz .LBB1_227
; %bb.225:
	s_mov_b32 s7, 0
.LBB1_226:                              ; =>This Inner Loop Header: Depth=1
	v_mov_b32_e32 v0, s4
	v_mov_b32_e32 v1, s5
	s_sleep 1
	global_store_dwordx2 v[4:5], v[2:3], off
	s_waitcnt_vscnt null, 0x0
	global_atomic_cmpswap_x2 v[0:1], v6, v[0:3], s[2:3] offset:32 glc
	s_waitcnt vmcnt(0)
	v_cmp_eq_u64_e32 vcc_lo, v[0:1], v[2:3]
	v_mov_b32_e32 v3, v1
	v_mov_b32_e32 v2, v0
	s_or_b32 s7, vcc_lo, s7
	s_andn2_b32 exec_lo, exec_lo, s7
	s_cbranch_execnz .LBB1_226
.LBB1_227:
	s_or_b32 exec_lo, exec_lo, s6
	v_mov_b32_e32 v3, 0
	s_mov_b32 s7, exec_lo
	s_mov_b32 s6, exec_lo
	v_mbcnt_lo_u32_b32 v2, s7, 0
	global_load_dwordx2 v[0:1], v3, s[2:3] offset:16
	v_cmpx_eq_u32_e32 0, v2
	s_cbranch_execz .LBB1_229
; %bb.228:
	s_bcnt1_i32_b32 s7, s7
	v_mov_b32_e32 v2, s7
	s_waitcnt vmcnt(0)
	global_atomic_add_x2 v[0:1], v[2:3], off offset:8
.LBB1_229:
	s_or_b32 exec_lo, exec_lo, s6
	s_waitcnt vmcnt(0)
	global_load_dwordx2 v[2:3], v[0:1], off offset:16
	s_waitcnt vmcnt(0)
	v_cmp_eq_u64_e32 vcc_lo, 0, v[2:3]
	s_cbranch_vccnz .LBB1_231
; %bb.230:
	global_load_dword v0, v[0:1], off offset:24
	v_mov_b32_e32 v1, 0
	s_waitcnt vmcnt(0)
	v_readfirstlane_b32 s6, v0
	s_waitcnt_vscnt null, 0x0
	global_store_dwordx2 v[2:3], v[0:1], off
	s_and_b32 m0, s6, 0x7fffff
	s_sendmsg sendmsg(MSG_INTERRUPT)
.LBB1_231:
	s_or_b32 exec_lo, exec_lo, s1
	s_branch .LBB1_235
	.p2align	6
.LBB1_232:                              ;   in Loop: Header=BB1_235 Depth=1
	s_or_b32 exec_lo, exec_lo, s1
	v_readfirstlane_b32 s1, v0
	s_cmp_eq_u32 s1, 0
	s_cbranch_scc1 .LBB1_234
; %bb.233:                              ;   in Loop: Header=BB1_235 Depth=1
	s_sleep 1
	s_cbranch_execnz .LBB1_235
	s_branch .LBB1_237
	.p2align	6
.LBB1_234:
	s_branch .LBB1_237
.LBB1_235:                              ; =>This Inner Loop Header: Depth=1
	v_mov_b32_e32 v0, 1
	s_and_saveexec_b32 s1, s0
	s_cbranch_execz .LBB1_232
; %bb.236:                              ;   in Loop: Header=BB1_235 Depth=1
	global_load_dword v0, v[8:9], off offset:20 glc dlc
	s_waitcnt vmcnt(0)
	buffer_gl1_inv
	buffer_gl0_inv
	v_and_b32_e32 v0, 1, v0
	s_branch .LBB1_232
.LBB1_237:
	s_and_b32 exec_lo, exec_lo, s0
	s_cbranch_execz .LBB1_241
; %bb.238:
	v_mov_b32_e32 v6, 0
	s_clause 0x2
	global_load_dwordx2 v[0:1], v6, s[2:3] offset:40
	global_load_dwordx2 v[9:10], v6, s[2:3] offset:24 glc dlc
	global_load_dwordx2 v[2:3], v6, s[2:3]
	s_waitcnt vmcnt(2)
	v_readfirstlane_b32 s6, v0
	v_readfirstlane_b32 s7, v1
	s_add_u32 s8, s6, 1
	s_addc_u32 s9, s7, 0
	s_add_u32 s0, s8, s4
	s_addc_u32 s1, s9, s5
	s_cmp_eq_u64 s[0:1], 0
	s_cselect_b32 s1, s9, s1
	s_cselect_b32 s0, s8, s0
	v_mov_b32_e32 v8, s1
	s_and_b64 s[4:5], s[0:1], s[6:7]
	v_mov_b32_e32 v7, s0
	s_mul_i32 s5, s5, 24
	s_mul_hi_u32 s6, s4, 24
	s_mul_i32 s4, s4, 24
	s_add_i32 s6, s6, s5
	s_waitcnt vmcnt(0)
	v_add_co_u32 v4, vcc_lo, v2, s4
	v_add_co_ci_u32_e64 v5, null, s6, v3, vcc_lo
	global_store_dwordx2 v[4:5], v[9:10], off
	s_waitcnt_vscnt null, 0x0
	global_atomic_cmpswap_x2 v[2:3], v6, v[7:10], s[2:3] offset:24 glc
	s_waitcnt vmcnt(0)
	v_cmp_ne_u64_e32 vcc_lo, v[2:3], v[9:10]
	s_and_b32 exec_lo, exec_lo, vcc_lo
	s_cbranch_execz .LBB1_241
; %bb.239:
	s_mov_b32 s4, 0
.LBB1_240:                              ; =>This Inner Loop Header: Depth=1
	v_mov_b32_e32 v0, s0
	v_mov_b32_e32 v1, s1
	s_sleep 1
	global_store_dwordx2 v[4:5], v[2:3], off
	s_waitcnt_vscnt null, 0x0
	global_atomic_cmpswap_x2 v[0:1], v6, v[0:3], s[2:3] offset:24 glc
	s_waitcnt vmcnt(0)
	v_cmp_eq_u64_e32 vcc_lo, v[0:1], v[2:3]
	v_mov_b32_e32 v3, v1
	v_mov_b32_e32 v2, v0
	s_or_b32 s4, vcc_lo, s4
	s_andn2_b32 exec_lo, exec_lo, s4
	s_cbranch_execnz .LBB1_240
.LBB1_241:
	s_endpgm
	.section	.rodata,"a",@progbits
	.p2align	6, 0x0
	.amdhsa_kernel _ZN4RAJA28launch_new_reduce_global_fcnIZ4mainEUlNS_14LaunchContextTINS_3hip33LaunchContextIndicesAndDimsPolicyINS2_14IndicesAndDimsILb0ELb0ELb0ELb0EEEEEEEE_NS_4expt15ForallParamPackIJEEEEEvT_T0_
		.amdhsa_group_segment_fixed_size 0
		.amdhsa_private_segment_fixed_size 0
		.amdhsa_kernarg_size 264
		.amdhsa_user_sgpr_count 6
		.amdhsa_user_sgpr_private_segment_buffer 1
		.amdhsa_user_sgpr_dispatch_ptr 0
		.amdhsa_user_sgpr_queue_ptr 0
		.amdhsa_user_sgpr_kernarg_segment_ptr 1
		.amdhsa_user_sgpr_dispatch_id 0
		.amdhsa_user_sgpr_flat_scratch_init 0
		.amdhsa_user_sgpr_private_segment_size 0
		.amdhsa_wavefront_size32 1
		.amdhsa_uses_dynamic_stack 0
		.amdhsa_system_sgpr_private_segment_wavefront_offset 0
		.amdhsa_system_sgpr_workgroup_id_x 1
		.amdhsa_system_sgpr_workgroup_id_y 1
		.amdhsa_system_sgpr_workgroup_id_z 0
		.amdhsa_system_sgpr_workgroup_info 0
		.amdhsa_system_vgpr_workitem_id 1
		.amdhsa_next_free_vgpr 35
		.amdhsa_next_free_sgpr 20
		.amdhsa_reserve_vcc 1
		.amdhsa_reserve_flat_scratch 0
		.amdhsa_float_round_mode_32 0
		.amdhsa_float_round_mode_16_64 0
		.amdhsa_float_denorm_mode_32 3
		.amdhsa_float_denorm_mode_16_64 3
		.amdhsa_dx10_clamp 1
		.amdhsa_ieee_mode 1
		.amdhsa_fp16_overflow 0
		.amdhsa_workgroup_processor_mode 1
		.amdhsa_memory_ordered 1
		.amdhsa_forward_progress 1
		.amdhsa_shared_vgpr_count 0
		.amdhsa_exception_fp_ieee_invalid_op 0
		.amdhsa_exception_fp_denorm_src 0
		.amdhsa_exception_fp_ieee_div_zero 0
		.amdhsa_exception_fp_ieee_overflow 0
		.amdhsa_exception_fp_ieee_underflow 0
		.amdhsa_exception_fp_ieee_inexact 0
		.amdhsa_exception_int_div_zero 0
	.end_amdhsa_kernel
	.section	.text._ZN4RAJA28launch_new_reduce_global_fcnIZ4mainEUlNS_14LaunchContextTINS_3hip33LaunchContextIndicesAndDimsPolicyINS2_14IndicesAndDimsILb0ELb0ELb0ELb0EEEEEEEE_NS_4expt15ForallParamPackIJEEEEEvT_T0_,"axG",@progbits,_ZN4RAJA28launch_new_reduce_global_fcnIZ4mainEUlNS_14LaunchContextTINS_3hip33LaunchContextIndicesAndDimsPolicyINS2_14IndicesAndDimsILb0ELb0ELb0ELb0EEEEEEEE_NS_4expt15ForallParamPackIJEEEEEvT_T0_,comdat
.Lfunc_end1:
	.size	_ZN4RAJA28launch_new_reduce_global_fcnIZ4mainEUlNS_14LaunchContextTINS_3hip33LaunchContextIndicesAndDimsPolicyINS2_14IndicesAndDimsILb0ELb0ELb0ELb0EEEEEEEE_NS_4expt15ForallParamPackIJEEEEEvT_T0_, .Lfunc_end1-_ZN4RAJA28launch_new_reduce_global_fcnIZ4mainEUlNS_14LaunchContextTINS_3hip33LaunchContextIndicesAndDimsPolicyINS2_14IndicesAndDimsILb0ELb0ELb0ELb0EEEEEEEE_NS_4expt15ForallParamPackIJEEEEEvT_T0_
                                        ; -- End function
	.set _ZN4RAJA28launch_new_reduce_global_fcnIZ4mainEUlNS_14LaunchContextTINS_3hip33LaunchContextIndicesAndDimsPolicyINS2_14IndicesAndDimsILb0ELb0ELb0ELb0EEEEEEEE_NS_4expt15ForallParamPackIJEEEEEvT_T0_.num_vgpr, 35
	.set _ZN4RAJA28launch_new_reduce_global_fcnIZ4mainEUlNS_14LaunchContextTINS_3hip33LaunchContextIndicesAndDimsPolicyINS2_14IndicesAndDimsILb0ELb0ELb0ELb0EEEEEEEE_NS_4expt15ForallParamPackIJEEEEEvT_T0_.num_agpr, 0
	.set _ZN4RAJA28launch_new_reduce_global_fcnIZ4mainEUlNS_14LaunchContextTINS_3hip33LaunchContextIndicesAndDimsPolicyINS2_14IndicesAndDimsILb0ELb0ELb0ELb0EEEEEEEE_NS_4expt15ForallParamPackIJEEEEEvT_T0_.numbered_sgpr, 20
	.set _ZN4RAJA28launch_new_reduce_global_fcnIZ4mainEUlNS_14LaunchContextTINS_3hip33LaunchContextIndicesAndDimsPolicyINS2_14IndicesAndDimsILb0ELb0ELb0ELb0EEEEEEEE_NS_4expt15ForallParamPackIJEEEEEvT_T0_.num_named_barrier, 0
	.set _ZN4RAJA28launch_new_reduce_global_fcnIZ4mainEUlNS_14LaunchContextTINS_3hip33LaunchContextIndicesAndDimsPolicyINS2_14IndicesAndDimsILb0ELb0ELb0ELb0EEEEEEEE_NS_4expt15ForallParamPackIJEEEEEvT_T0_.private_seg_size, 0
	.set _ZN4RAJA28launch_new_reduce_global_fcnIZ4mainEUlNS_14LaunchContextTINS_3hip33LaunchContextIndicesAndDimsPolicyINS2_14IndicesAndDimsILb0ELb0ELb0ELb0EEEEEEEE_NS_4expt15ForallParamPackIJEEEEEvT_T0_.uses_vcc, 1
	.set _ZN4RAJA28launch_new_reduce_global_fcnIZ4mainEUlNS_14LaunchContextTINS_3hip33LaunchContextIndicesAndDimsPolicyINS2_14IndicesAndDimsILb0ELb0ELb0ELb0EEEEEEEE_NS_4expt15ForallParamPackIJEEEEEvT_T0_.uses_flat_scratch, 0
	.set _ZN4RAJA28launch_new_reduce_global_fcnIZ4mainEUlNS_14LaunchContextTINS_3hip33LaunchContextIndicesAndDimsPolicyINS2_14IndicesAndDimsILb0ELb0ELb0ELb0EEEEEEEE_NS_4expt15ForallParamPackIJEEEEEvT_T0_.has_dyn_sized_stack, 0
	.set _ZN4RAJA28launch_new_reduce_global_fcnIZ4mainEUlNS_14LaunchContextTINS_3hip33LaunchContextIndicesAndDimsPolicyINS2_14IndicesAndDimsILb0ELb0ELb0ELb0EEEEEEEE_NS_4expt15ForallParamPackIJEEEEEvT_T0_.has_recursion, 0
	.set _ZN4RAJA28launch_new_reduce_global_fcnIZ4mainEUlNS_14LaunchContextTINS_3hip33LaunchContextIndicesAndDimsPolicyINS2_14IndicesAndDimsILb0ELb0ELb0ELb0EEEEEEEE_NS_4expt15ForallParamPackIJEEEEEvT_T0_.has_indirect_call, 0
	.section	.AMDGPU.csdata,"",@progbits
; Kernel info:
; codeLenInByte = 10524
; TotalNumSgprs: 22
; NumVgprs: 35
; ScratchSize: 0
; MemoryBound: 0
; FloatMode: 240
; IeeeMode: 1
; LDSByteSize: 0 bytes/workgroup (compile time only)
; SGPRBlocks: 0
; VGPRBlocks: 4
; NumSGPRsForWavesPerEU: 22
; NumVGPRsForWavesPerEU: 35
; Occupancy: 16
; WaveLimiterHint : 1
; COMPUTE_PGM_RSRC2:SCRATCH_EN: 0
; COMPUTE_PGM_RSRC2:USER_SGPR: 6
; COMPUTE_PGM_RSRC2:TRAP_HANDLER: 0
; COMPUTE_PGM_RSRC2:TGID_X_EN: 1
; COMPUTE_PGM_RSRC2:TGID_Y_EN: 1
; COMPUTE_PGM_RSRC2:TGID_Z_EN: 0
; COMPUTE_PGM_RSRC2:TIDIG_COMP_CNT: 1
	.text
	.p2alignl 6, 3214868480
	.fill 48, 4, 3214868480
	.section	.AMDGPU.gpr_maximums,"",@progbits
	.set amdgpu.max_num_vgpr, 0
	.set amdgpu.max_num_agpr, 0
	.set amdgpu.max_num_sgpr, 0
	.text
	.type	.str,@object                    ; @.str
	.section	.rodata.str1.1,"aMS",@progbits,1
.str:
	.asciz	"device-iter: threadIdx_tx %d threadIdx_ty %d block_bx %d block_by %d \n"
	.size	.str, 71

	.type	.str.1,@object                  ; @.str.1
.str.1:
	.asciz	"RAJA Teams: threadId_x %d threadId_y %d teamId_x %d teamId_y %d \n"
	.size	.str.1, 66

	.type	__hip_cuid_9de4676c3c2a5fe3,@object ; @__hip_cuid_9de4676c3c2a5fe3
	.section	.bss,"aw",@nobits
	.globl	__hip_cuid_9de4676c3c2a5fe3
__hip_cuid_9de4676c3c2a5fe3:
	.byte	0                               ; 0x0
	.size	__hip_cuid_9de4676c3c2a5fe3, 1

	.ident	"AMD clang version 22.0.0git (https://github.com/RadeonOpenCompute/llvm-project roc-7.2.4 26084 f58b06dce1f9c15707c5f808fd002e18c2accf7e)"
	.section	".note.GNU-stack","",@progbits
	.addrsig
	.addrsig_sym __hip_cuid_9de4676c3c2a5fe3
	.amdgpu_metadata
---
amdhsa.kernels:
  - .args:
      - .offset:         0
        .size:           4
        .value_kind:     hidden_block_count_x
      - .offset:         4
        .size:           4
        .value_kind:     hidden_block_count_y
      - .offset:         8
        .size:           4
        .value_kind:     hidden_block_count_z
      - .offset:         12
        .size:           2
        .value_kind:     hidden_group_size_x
      - .offset:         14
        .size:           2
        .value_kind:     hidden_group_size_y
      - .offset:         16
        .size:           2
        .value_kind:     hidden_group_size_z
      - .offset:         18
        .size:           2
        .value_kind:     hidden_remainder_x
      - .offset:         20
        .size:           2
        .value_kind:     hidden_remainder_y
      - .offset:         22
        .size:           2
        .value_kind:     hidden_remainder_z
      - .offset:         40
        .size:           8
        .value_kind:     hidden_global_offset_x
      - .offset:         48
        .size:           8
        .value_kind:     hidden_global_offset_y
      - .offset:         56
        .size:           8
        .value_kind:     hidden_global_offset_z
      - .offset:         64
        .size:           2
        .value_kind:     hidden_grid_dims
      - .offset:         80
        .size:           8
        .value_kind:     hidden_hostcall_buffer
    .group_segment_fixed_size: 0
    .kernarg_segment_align: 8
    .kernarg_segment_size: 256
    .language:       OpenCL C
    .language_version:
      - 2
      - 0
    .max_flat_workgroup_size: 1024
    .name:           _Z9gpuKernelv
    .private_segment_fixed_size: 0
    .sgpr_count:     22
    .sgpr_spill_count: 0
    .symbol:         _Z9gpuKernelv.kd
    .uniform_work_group_size: 1
    .uses_dynamic_stack: false
    .vgpr_count:     34
    .vgpr_spill_count: 0
    .wavefront_size: 32
    .workgroup_processor_mode: 1
  - .args:
      - .offset:         0
        .size:           1
        .value_kind:     by_value
      - .offset:         1
        .size:           1
        .value_kind:     by_value
      - .offset:         8
        .size:           4
        .value_kind:     hidden_block_count_x
      - .offset:         12
        .size:           4
        .value_kind:     hidden_block_count_y
      - .offset:         16
        .size:           4
        .value_kind:     hidden_block_count_z
      - .offset:         20
        .size:           2
        .value_kind:     hidden_group_size_x
      - .offset:         22
        .size:           2
        .value_kind:     hidden_group_size_y
      - .offset:         24
        .size:           2
        .value_kind:     hidden_group_size_z
      - .offset:         26
        .size:           2
        .value_kind:     hidden_remainder_x
      - .offset:         28
        .size:           2
        .value_kind:     hidden_remainder_y
      - .offset:         30
        .size:           2
        .value_kind:     hidden_remainder_z
      - .offset:         48
        .size:           8
        .value_kind:     hidden_global_offset_x
      - .offset:         56
        .size:           8
        .value_kind:     hidden_global_offset_y
      - .offset:         64
        .size:           8
        .value_kind:     hidden_global_offset_z
      - .offset:         72
        .size:           2
        .value_kind:     hidden_grid_dims
      - .offset:         88
        .size:           8
        .value_kind:     hidden_hostcall_buffer
    .group_segment_fixed_size: 0
    .kernarg_segment_align: 8
    .kernarg_segment_size: 264
    .language:       OpenCL C
    .language_version:
      - 2
      - 0
    .max_flat_workgroup_size: 1024
    .name:           _ZN4RAJA28launch_new_reduce_global_fcnIZ4mainEUlNS_14LaunchContextTINS_3hip33LaunchContextIndicesAndDimsPolicyINS2_14IndicesAndDimsILb0ELb0ELb0ELb0EEEEEEEE_NS_4expt15ForallParamPackIJEEEEEvT_T0_
    .private_segment_fixed_size: 0
    .sgpr_count:     22
    .sgpr_spill_count: 0
    .symbol:         _ZN4RAJA28launch_new_reduce_global_fcnIZ4mainEUlNS_14LaunchContextTINS_3hip33LaunchContextIndicesAndDimsPolicyINS2_14IndicesAndDimsILb0ELb0ELb0ELb0EEEEEEEE_NS_4expt15ForallParamPackIJEEEEEvT_T0_.kd
    .uniform_work_group_size: 1
    .uses_dynamic_stack: false
    .vgpr_count:     35
    .vgpr_spill_count: 0
    .wavefront_size: 32
    .workgroup_processor_mode: 1
amdhsa.target:   amdgcn-amd-amdhsa--gfx1030
amdhsa.version:
  - 1
  - 2
...

	.end_amdgpu_metadata
